;; amdgpu-corpus repo=ROCm/rocFFT kind=compiled arch=gfx906 opt=O3
	.text
	.amdgcn_target "amdgcn-amd-amdhsa--gfx906"
	.amdhsa_code_object_version 6
	.protected	fft_rtc_fwd_len2250_factors_10_3_5_3_5_wgs_90_tpt_90_halfLds_dp_ip_CI_unitstride_sbrr_R2C_dirReg ; -- Begin function fft_rtc_fwd_len2250_factors_10_3_5_3_5_wgs_90_tpt_90_halfLds_dp_ip_CI_unitstride_sbrr_R2C_dirReg
	.globl	fft_rtc_fwd_len2250_factors_10_3_5_3_5_wgs_90_tpt_90_halfLds_dp_ip_CI_unitstride_sbrr_R2C_dirReg
	.p2align	8
	.type	fft_rtc_fwd_len2250_factors_10_3_5_3_5_wgs_90_tpt_90_halfLds_dp_ip_CI_unitstride_sbrr_R2C_dirReg,@function
fft_rtc_fwd_len2250_factors_10_3_5_3_5_wgs_90_tpt_90_halfLds_dp_ip_CI_unitstride_sbrr_R2C_dirReg: ; @fft_rtc_fwd_len2250_factors_10_3_5_3_5_wgs_90_tpt_90_halfLds_dp_ip_CI_unitstride_sbrr_R2C_dirReg
; %bb.0:
	s_load_dwordx2 s[12:13], s[4:5], 0x50
	s_load_dwordx4 s[8:11], s[4:5], 0x0
	s_load_dwordx2 s[2:3], s[4:5], 0x18
	v_mul_u32_u24_e32 v1, 0x2d9, v0
	v_add_u32_sdwa v5, s6, v1 dst_sel:DWORD dst_unused:UNUSED_PAD src0_sel:DWORD src1_sel:WORD_1
	v_mov_b32_e32 v3, 0
	s_waitcnt lgkmcnt(0)
	v_cmp_lt_u64_e64 s[0:1], s[10:11], 2
	v_mov_b32_e32 v1, 0
	v_mov_b32_e32 v6, v3
	s_and_b64 vcc, exec, s[0:1]
	v_mov_b32_e32 v2, 0
	s_cbranch_vccnz .LBB0_8
; %bb.1:
	s_load_dwordx2 s[0:1], s[4:5], 0x10
	s_add_u32 s6, s2, 8
	s_addc_u32 s7, s3, 0
	v_mov_b32_e32 v1, 0
	v_mov_b32_e32 v2, 0
	s_waitcnt lgkmcnt(0)
	s_add_u32 s14, s0, 8
	s_addc_u32 s15, s1, 0
	s_mov_b64 s[16:17], 1
.LBB0_2:                                ; =>This Inner Loop Header: Depth=1
	s_load_dwordx2 s[18:19], s[14:15], 0x0
                                        ; implicit-def: $vgpr7_vgpr8
	s_waitcnt lgkmcnt(0)
	v_or_b32_e32 v4, s19, v6
	v_cmp_ne_u64_e32 vcc, 0, v[3:4]
	s_and_saveexec_b64 s[0:1], vcc
	s_xor_b64 s[20:21], exec, s[0:1]
	s_cbranch_execz .LBB0_4
; %bb.3:                                ;   in Loop: Header=BB0_2 Depth=1
	v_cvt_f32_u32_e32 v4, s18
	v_cvt_f32_u32_e32 v7, s19
	s_sub_u32 s0, 0, s18
	s_subb_u32 s1, 0, s19
	v_mac_f32_e32 v4, 0x4f800000, v7
	v_rcp_f32_e32 v4, v4
	v_mul_f32_e32 v4, 0x5f7ffffc, v4
	v_mul_f32_e32 v7, 0x2f800000, v4
	v_trunc_f32_e32 v7, v7
	v_mac_f32_e32 v4, 0xcf800000, v7
	v_cvt_u32_f32_e32 v7, v7
	v_cvt_u32_f32_e32 v4, v4
	v_mul_lo_u32 v8, s0, v7
	v_mul_hi_u32 v9, s0, v4
	v_mul_lo_u32 v11, s1, v4
	v_mul_lo_u32 v10, s0, v4
	v_add_u32_e32 v8, v9, v8
	v_add_u32_e32 v8, v8, v11
	v_mul_hi_u32 v9, v4, v10
	v_mul_lo_u32 v11, v4, v8
	v_mul_hi_u32 v13, v4, v8
	v_mul_hi_u32 v12, v7, v10
	v_mul_lo_u32 v10, v7, v10
	v_mul_hi_u32 v14, v7, v8
	v_add_co_u32_e32 v9, vcc, v9, v11
	v_addc_co_u32_e32 v11, vcc, 0, v13, vcc
	v_mul_lo_u32 v8, v7, v8
	v_add_co_u32_e32 v9, vcc, v9, v10
	v_addc_co_u32_e32 v9, vcc, v11, v12, vcc
	v_addc_co_u32_e32 v10, vcc, 0, v14, vcc
	v_add_co_u32_e32 v8, vcc, v9, v8
	v_addc_co_u32_e32 v9, vcc, 0, v10, vcc
	v_add_co_u32_e32 v4, vcc, v4, v8
	v_addc_co_u32_e32 v7, vcc, v7, v9, vcc
	v_mul_lo_u32 v8, s0, v7
	v_mul_hi_u32 v9, s0, v4
	v_mul_lo_u32 v10, s1, v4
	v_mul_lo_u32 v11, s0, v4
	v_add_u32_e32 v8, v9, v8
	v_add_u32_e32 v8, v8, v10
	v_mul_lo_u32 v12, v4, v8
	v_mul_hi_u32 v13, v4, v11
	v_mul_hi_u32 v14, v4, v8
	;; [unrolled: 1-line block ×3, first 2 shown]
	v_mul_lo_u32 v11, v7, v11
	v_mul_hi_u32 v9, v7, v8
	v_add_co_u32_e32 v12, vcc, v13, v12
	v_addc_co_u32_e32 v13, vcc, 0, v14, vcc
	v_mul_lo_u32 v8, v7, v8
	v_add_co_u32_e32 v11, vcc, v12, v11
	v_addc_co_u32_e32 v10, vcc, v13, v10, vcc
	v_addc_co_u32_e32 v9, vcc, 0, v9, vcc
	v_add_co_u32_e32 v8, vcc, v10, v8
	v_addc_co_u32_e32 v9, vcc, 0, v9, vcc
	v_add_co_u32_e32 v4, vcc, v4, v8
	v_addc_co_u32_e32 v9, vcc, v7, v9, vcc
	v_mad_u64_u32 v[7:8], s[0:1], v5, v9, 0
	v_mul_hi_u32 v10, v5, v4
	v_add_co_u32_e32 v11, vcc, v10, v7
	v_addc_co_u32_e32 v12, vcc, 0, v8, vcc
	v_mad_u64_u32 v[7:8], s[0:1], v6, v4, 0
	v_mad_u64_u32 v[9:10], s[0:1], v6, v9, 0
	v_add_co_u32_e32 v4, vcc, v11, v7
	v_addc_co_u32_e32 v4, vcc, v12, v8, vcc
	v_addc_co_u32_e32 v7, vcc, 0, v10, vcc
	v_add_co_u32_e32 v4, vcc, v4, v9
	v_addc_co_u32_e32 v9, vcc, 0, v7, vcc
	v_mul_lo_u32 v10, s19, v4
	v_mul_lo_u32 v11, s18, v9
	v_mad_u64_u32 v[7:8], s[0:1], s18, v4, 0
	v_add3_u32 v8, v8, v11, v10
	v_sub_u32_e32 v10, v6, v8
	v_mov_b32_e32 v11, s19
	v_sub_co_u32_e32 v7, vcc, v5, v7
	v_subb_co_u32_e64 v10, s[0:1], v10, v11, vcc
	v_subrev_co_u32_e64 v11, s[0:1], s18, v7
	v_subbrev_co_u32_e64 v10, s[0:1], 0, v10, s[0:1]
	v_cmp_le_u32_e64 s[0:1], s19, v10
	v_cndmask_b32_e64 v12, 0, -1, s[0:1]
	v_cmp_le_u32_e64 s[0:1], s18, v11
	v_cndmask_b32_e64 v11, 0, -1, s[0:1]
	v_cmp_eq_u32_e64 s[0:1], s19, v10
	v_cndmask_b32_e64 v10, v12, v11, s[0:1]
	v_add_co_u32_e64 v11, s[0:1], 2, v4
	v_addc_co_u32_e64 v12, s[0:1], 0, v9, s[0:1]
	v_add_co_u32_e64 v13, s[0:1], 1, v4
	v_addc_co_u32_e64 v14, s[0:1], 0, v9, s[0:1]
	v_subb_co_u32_e32 v8, vcc, v6, v8, vcc
	v_cmp_ne_u32_e64 s[0:1], 0, v10
	v_cmp_le_u32_e32 vcc, s19, v8
	v_cndmask_b32_e64 v10, v14, v12, s[0:1]
	v_cndmask_b32_e64 v12, 0, -1, vcc
	v_cmp_le_u32_e32 vcc, s18, v7
	v_cndmask_b32_e64 v7, 0, -1, vcc
	v_cmp_eq_u32_e32 vcc, s19, v8
	v_cndmask_b32_e32 v7, v12, v7, vcc
	v_cmp_ne_u32_e32 vcc, 0, v7
	v_cndmask_b32_e64 v7, v13, v11, s[0:1]
	v_cndmask_b32_e32 v8, v9, v10, vcc
	v_cndmask_b32_e32 v7, v4, v7, vcc
.LBB0_4:                                ;   in Loop: Header=BB0_2 Depth=1
	s_andn2_saveexec_b64 s[0:1], s[20:21]
	s_cbranch_execz .LBB0_6
; %bb.5:                                ;   in Loop: Header=BB0_2 Depth=1
	v_cvt_f32_u32_e32 v4, s18
	s_sub_i32 s20, 0, s18
	v_rcp_iflag_f32_e32 v4, v4
	v_mul_f32_e32 v4, 0x4f7ffffe, v4
	v_cvt_u32_f32_e32 v4, v4
	v_mul_lo_u32 v7, s20, v4
	v_mul_hi_u32 v7, v4, v7
	v_add_u32_e32 v4, v4, v7
	v_mul_hi_u32 v4, v5, v4
	v_mul_lo_u32 v7, v4, s18
	v_add_u32_e32 v8, 1, v4
	v_sub_u32_e32 v7, v5, v7
	v_subrev_u32_e32 v9, s18, v7
	v_cmp_le_u32_e32 vcc, s18, v7
	v_cndmask_b32_e32 v7, v7, v9, vcc
	v_cndmask_b32_e32 v4, v4, v8, vcc
	v_add_u32_e32 v8, 1, v4
	v_cmp_le_u32_e32 vcc, s18, v7
	v_cndmask_b32_e32 v7, v4, v8, vcc
	v_mov_b32_e32 v8, v3
.LBB0_6:                                ;   in Loop: Header=BB0_2 Depth=1
	s_or_b64 exec, exec, s[0:1]
	v_mul_lo_u32 v4, v8, s18
	v_mul_lo_u32 v11, v7, s19
	v_mad_u64_u32 v[9:10], s[0:1], v7, s18, 0
	s_load_dwordx2 s[0:1], s[6:7], 0x0
	s_add_u32 s16, s16, 1
	v_add3_u32 v4, v10, v11, v4
	v_sub_co_u32_e32 v5, vcc, v5, v9
	v_subb_co_u32_e32 v4, vcc, v6, v4, vcc
	s_waitcnt lgkmcnt(0)
	v_mul_lo_u32 v4, s0, v4
	v_mul_lo_u32 v6, s1, v5
	v_mad_u64_u32 v[1:2], s[0:1], s0, v5, v[1:2]
	s_addc_u32 s17, s17, 0
	s_add_u32 s6, s6, 8
	v_add3_u32 v2, v6, v2, v4
	v_mov_b32_e32 v4, s10
	v_mov_b32_e32 v5, s11
	s_addc_u32 s7, s7, 0
	v_cmp_ge_u64_e32 vcc, s[16:17], v[4:5]
	s_add_u32 s14, s14, 8
	s_addc_u32 s15, s15, 0
	s_cbranch_vccnz .LBB0_9
; %bb.7:                                ;   in Loop: Header=BB0_2 Depth=1
	v_mov_b32_e32 v5, v7
	v_mov_b32_e32 v6, v8
	s_branch .LBB0_2
.LBB0_8:
	v_mov_b32_e32 v8, v6
	v_mov_b32_e32 v7, v5
.LBB0_9:
	s_lshl_b64 s[0:1], s[10:11], 3
	s_add_u32 s0, s2, s0
	s_addc_u32 s1, s3, s1
	s_load_dwordx2 s[2:3], s[0:1], 0x0
	s_load_dwordx2 s[6:7], s[4:5], 0x20
                                        ; implicit-def: $vgpr112
                                        ; implicit-def: $vgpr114
	s_waitcnt lgkmcnt(0)
	v_mad_u64_u32 v[1:2], s[0:1], s2, v7, v[1:2]
	s_mov_b32 s0, 0x2d82d83
	v_mul_lo_u32 v3, s2, v8
	v_mul_lo_u32 v4, s3, v7
	v_mul_hi_u32 v5, v0, s0
	v_cmp_gt_u64_e64 s[0:1], s[6:7], v[7:8]
	v_cmp_le_u64_e32 vcc, s[6:7], v[7:8]
	v_add3_u32 v2, v4, v2, v3
	v_mul_u32_u24_e32 v3, 0x5a, v5
	v_sub_u32_e32 v108, v0, v3
	s_and_saveexec_b64 s[2:3], vcc
	s_xor_b64 s[2:3], exec, s[2:3]
; %bb.10:
	v_add_u32_e32 v112, 0x5a, v108
	v_add_u32_e32 v114, 0xb4, v108
; %bb.11:
	s_or_saveexec_b64 s[2:3], s[2:3]
	v_lshlrev_b64 v[110:111], 4, v[1:2]
	v_lshl_add_u32 v125, v108, 4, 0
	s_xor_b64 exec, exec, s[2:3]
	s_cbranch_execz .LBB0_13
; %bb.12:
	v_mov_b32_e32 v109, 0
	v_mov_b32_e32 v0, s13
	v_add_co_u32_e32 v2, vcc, s12, v110
	v_addc_co_u32_e32 v3, vcc, v0, v111, vcc
	v_lshlrev_b64 v[0:1], 4, v[108:109]
	s_movk_i32 s4, 0x1000
	v_add_co_u32_e32 v88, vcc, v2, v0
	v_addc_co_u32_e32 v89, vcc, v3, v1, vcc
	v_add_co_u32_e32 v24, vcc, s4, v88
	v_addc_co_u32_e32 v25, vcc, 0, v89, vcc
	s_movk_i32 s4, 0x2000
	v_add_co_u32_e32 v40, vcc, s4, v88
	v_addc_co_u32_e32 v41, vcc, 0, v89, vcc
	s_movk_i32 s4, 0x3000
	;; [unrolled: 3-line block ×4, first 2 shown]
	v_add_co_u32_e32 v82, vcc, s4, v88
	s_movk_i32 s5, 0x6000
	v_addc_co_u32_e32 v83, vcc, 0, v89, vcc
	v_add_co_u32_e32 v84, vcc, s5, v88
	v_addc_co_u32_e32 v85, vcc, 0, v89, vcc
	s_movk_i32 s4, 0x7000
	v_add_co_u32_e32 v100, vcc, s4, v88
	v_addc_co_u32_e32 v101, vcc, 0, v89, vcc
	v_add_co_u32_e32 v102, vcc, 0x8000, v88
	global_load_dwordx4 v[0:3], v[88:89], off
	global_load_dwordx4 v[4:7], v[88:89], off offset:1440
	global_load_dwordx4 v[8:11], v[88:89], off offset:2880
	;; [unrolled: 1-line block ×5, first 2 shown]
	s_nop 0
	global_load_dwordx4 v[24:27], v[40:41], off offset:448
	global_load_dwordx4 v[28:31], v[40:41], off offset:1888
	global_load_dwordx4 v[32:35], v[40:41], off offset:3328
	global_load_dwordx4 v[36:39], v[56:57], off offset:672
	s_nop 0
	global_load_dwordx4 v[40:43], v[56:57], off offset:2112
	global_load_dwordx4 v[44:47], v[56:57], off offset:3552
	global_load_dwordx4 v[48:51], v[80:81], off offset:896
	global_load_dwordx4 v[52:55], v[80:81], off offset:2336
	s_nop 0
	global_load_dwordx4 v[56:59], v[80:81], off offset:3776
	global_load_dwordx4 v[60:63], v[82:83], off offset:1120
	global_load_dwordx4 v[64:67], v[82:83], off offset:2560
	global_load_dwordx4 v[68:71], v[82:83], off offset:4000
	global_load_dwordx4 v[72:75], v[84:85], off offset:1344
	global_load_dwordx4 v[76:79], v[84:85], off offset:2784
	s_nop 0
	global_load_dwordx4 v[80:83], v[100:101], off offset:128
	global_load_dwordx4 v[84:87], v[100:101], off offset:1568
	v_addc_co_u32_e32 v103, vcc, 0, v89, vcc
	global_load_dwordx4 v[88:91], v[100:101], off offset:3008
	global_load_dwordx4 v[92:95], v[102:103], off offset:352
	;; [unrolled: 1-line block ×3, first 2 shown]
	v_add_u32_e32 v112, 0x5a, v108
	v_add_u32_e32 v114, 0xb4, v108
	s_waitcnt vmcnt(24)
	ds_write_b128 v125, v[0:3]
	s_waitcnt vmcnt(23)
	ds_write_b128 v125, v[4:7] offset:1440
	s_waitcnt vmcnt(22)
	ds_write_b128 v125, v[8:11] offset:2880
	;; [unrolled: 2-line block ×24, first 2 shown]
.LBB0_13:
	s_or_b64 exec, exec, s[2:3]
	s_waitcnt lgkmcnt(0)
	s_barrier
	ds_read_b128 v[0:3], v125 offset:7200
	ds_read_b128 v[40:43], v125
	ds_read_b128 v[8:11], v125 offset:1440
	ds_read_b128 v[28:31], v125 offset:8640
	;; [unrolled: 1-line block ×7, first 2 shown]
	s_waitcnt lgkmcnt(7)
	v_add_f64 v[16:17], v[40:41], v[0:1]
	v_add_f64 v[18:19], v[42:43], v[2:3]
	ds_read_b128 v[24:27], v125 offset:23040
	s_waitcnt lgkmcnt(4)
	v_add_f64 v[60:61], v[4:5], v[12:13]
	s_waitcnt lgkmcnt(1)
	v_add_f64 v[58:59], v[48:49], v[44:45]
	v_add_f64 v[80:81], v[6:7], -v[14:15]
	v_add_f64 v[66:67], v[0:1], -v[4:5]
	v_add_f64 v[68:69], v[4:5], -v[0:1]
	v_add_f64 v[20:21], v[16:17], v[4:5]
	v_add_f64 v[22:23], v[18:19], v[6:7]
	ds_read_b128 v[16:19], v125 offset:28800
	v_add_f64 v[62:63], v[6:7], v[14:15]
	v_add_f64 v[82:83], v[4:5], -v[12:13]
	v_add_f64 v[70:71], v[2:3], -v[6:7]
	v_add_f64 v[72:73], v[6:7], -v[2:3]
	ds_read_b128 v[36:39], v125 offset:30240
	s_waitcnt lgkmcnt(1)
	v_add_f64 v[84:85], v[2:3], -v[18:19]
	v_add_f64 v[64:65], v[0:1], v[16:17]
	v_add_f64 v[86:87], v[0:1], -v[16:17]
	v_add_f64 v[74:75], v[2:3], v[18:19]
	v_add_f64 v[52:53], v[20:21], v[12:13]
	;; [unrolled: 1-line block ×3, first 2 shown]
	ds_read_b128 v[0:3], v125 offset:2880
	ds_read_b128 v[4:7], v125 offset:10080
	;; [unrolled: 1-line block ×3, first 2 shown]
	v_add_f64 v[76:77], v[16:17], -v[12:13]
	v_add_f64 v[78:79], v[12:13], -v[16:17]
	;; [unrolled: 1-line block ×3, first 2 shown]
	v_add_f64 v[90:91], v[50:51], v[46:47]
	v_add_f64 v[92:93], v[14:15], -v[18:19]
	ds_read_b128 v[12:15], v125 offset:17280
	s_waitcnt lgkmcnt(1)
	v_add_f64 v[98:99], v[58:59], v[20:21]
	v_add_f64 v[94:95], v[52:53], v[16:17]
	ds_read_b128 v[52:55], v125 offset:25200
	v_add_f64 v[96:97], v[56:57], v[18:19]
	ds_read_b128 v[16:19], v125 offset:24480
	;; [unrolled: 2-line block ×3, first 2 shown]
	s_waitcnt lgkmcnt(2)
	v_add_f64 v[100:101], v[20:21], v[52:53]
	v_add_f64 v[115:116], v[22:23], v[54:55]
	;; [unrolled: 1-line block ×3, first 2 shown]
	v_add_f64 v[102:103], v[22:23], -v[54:55]
	v_add_f64 v[104:105], v[44:45], -v[20:21]
	v_add_f64 v[106:107], v[20:21], -v[44:45]
	v_add_f64 v[117:118], v[20:21], -v[52:53]
	v_add_f64 v[119:120], v[46:47], -v[22:23]
	v_add_f64 v[121:122], v[22:23], -v[46:47]
	ds_read_b128 v[20:23], v125 offset:31680
	s_waitcnt lgkmcnt(1)
	v_add_f64 v[123:124], v[46:47], -v[58:59]
	v_add_f64 v[126:127], v[44:45], v[56:57]
	v_add_f64 v[90:91], v[90:91], v[54:55]
	v_add_f64 v[44:45], v[44:45], -v[56:57]
	v_add_f64 v[46:47], v[46:47], v[58:59]
	v_add_f64 v[128:129], v[56:57], -v[52:53]
	v_add_f64 v[52:53], v[52:53], -v[56:57]
	v_add_f64 v[56:57], v[98:99], v[56:57]
	v_fma_f64 v[98:99], v[62:63], -0.5, v[42:43]
	v_fma_f64 v[42:43], v[74:75], -0.5, v[42:43]
	;; [unrolled: 1-line block ×4, first 2 shown]
	s_mov_b32 s2, 0x134454ff
	s_mov_b32 s3, 0x3fee6f0e
	;; [unrolled: 1-line block ×4, first 2 shown]
	v_add_f64 v[130:131], v[58:59], -v[54:55]
	v_add_f64 v[54:55], v[54:55], -v[58:59]
	v_add_f64 v[58:59], v[90:91], v[58:59]
	v_fma_f64 v[90:91], v[60:61], -0.5, v[40:41]
	v_fma_f64 v[40:41], v[64:65], -0.5, v[40:41]
	;; [unrolled: 1-line block ×4, first 2 shown]
	v_fma_f64 v[50:51], v[123:124], s[2:3], v[74:75]
	v_fma_f64 v[64:65], v[44:45], s[4:5], v[100:101]
	s_mov_b32 s10, 0x4755a5e
	s_mov_b32 s11, 0x3fe2cf23
	;; [unrolled: 1-line block ×4, first 2 shown]
	v_add_f64 v[60:61], v[94:95], v[56:57]
	v_add_f64 v[104:105], v[104:105], v[128:129]
	;; [unrolled: 1-line block ×3, first 2 shown]
	v_fma_f64 v[50:51], v[102:103], s[10:11], v[50:51]
	v_fma_f64 v[119:120], v[117:118], s[14:15], v[64:65]
	v_add_f64 v[64:65], v[94:95], -v[56:57]
	v_add_f64 v[56:57], v[66:67], v[76:77]
	v_fma_f64 v[66:67], v[117:118], s[2:3], v[46:47]
	v_fma_f64 v[76:77], v[102:103], s[4:5], v[48:49]
	s_mov_b32 s6, 0x372fe950
	s_mov_b32 s7, 0x3fd3c6ef
	v_fma_f64 v[50:51], v[104:105], s[6:7], v[50:51]
	v_add_f64 v[54:55], v[121:122], v[54:55]
	v_add_f64 v[52:53], v[106:107], v[52:53]
	s_mov_b32 s16, 0x9b97f4a8
	v_fma_f64 v[66:67], v[44:45], s[14:15], v[66:67]
	v_fma_f64 v[76:77], v[123:124], s[10:11], v[76:77]
	s_mov_b32 s17, 0x3fe9e377
	v_add_f64 v[62:63], v[96:97], v[58:59]
	v_fma_f64 v[94:95], v[115:116], s[6:7], v[119:120]
	v_fma_f64 v[106:107], v[86:87], s[4:5], v[98:99]
	v_mul_f64 v[121:122], v[50:51], s[16:17]
	v_mul_f64 v[50:51], v[50:51], s[14:15]
	v_fma_f64 v[126:127], v[54:55], s[6:7], v[66:67]
	v_add_f64 v[66:67], v[96:97], -v[58:59]
	v_fma_f64 v[58:59], v[52:53], s[6:7], v[76:77]
	v_add_f64 v[88:89], v[70:71], v[88:89]
	v_fma_f64 v[48:49], v[102:103], s[2:3], v[48:49]
	v_fma_f64 v[70:71], v[82:83], s[14:15], v[106:107]
	;; [unrolled: 1-line block ×6, first 2 shown]
	v_mul_f64 v[121:122], v[58:59], s[4:5]
	v_add_f64 v[92:93], v[72:73], v[92:93]
	v_fma_f64 v[100:101], v[44:45], s[2:3], v[100:101]
	v_fma_f64 v[128:129], v[88:89], s[6:7], v[70:71]
	;; [unrolled: 1-line block ×9, first 2 shown]
	v_add_f64 v[70:71], v[128:129], v[50:51]
	v_add_f64 v[74:75], v[128:129], -v[50:51]
	v_fma_f64 v[50:51], v[117:118], s[10:11], v[100:101]
	v_fma_f64 v[40:41], v[80:81], s[2:3], v[40:41]
	;; [unrolled: 1-line block ×10, first 2 shown]
	v_mul_f64 v[106:107], v[126:127], s[2:3]
	v_add_f64 v[130:131], v[68:69], v[78:79]
	v_fma_f64 v[46:47], v[104:105], s[6:7], v[46:47]
	v_fma_f64 v[78:79], v[86:87], s[14:15], v[96:97]
	;; [unrolled: 1-line block ×4, first 2 shown]
	v_mul_f64 v[84:85], v[48:49], s[6:7]
	v_mul_f64 v[86:87], v[44:45], s[6:7]
	v_fma_f64 v[52:53], v[80:81], s[14:15], v[52:53]
	v_fma_f64 v[54:55], v[82:83], s[10:11], v[54:55]
	v_mul_f64 v[80:81], v[46:47], s[16:17]
	v_mul_f64 v[82:83], v[50:51], s[16:17]
	v_fma_f64 v[119:120], v[56:57], s[6:7], v[119:120]
	v_fma_f64 v[58:59], v[58:59], s[6:7], v[106:107]
	;; [unrolled: 1-line block ×6, first 2 shown]
	v_fma_f64 v[44:45], v[44:45], s[2:3], -v[84:85]
	v_fma_f64 v[48:49], v[48:49], s[4:5], -v[86:87]
	v_fma_f64 v[52:53], v[56:57], s[6:7], v[52:53]
	v_fma_f64 v[54:55], v[88:89], s[6:7], v[54:55]
	v_fma_f64 v[50:51], v[50:51], s[10:11], -v[80:81]
	v_fma_f64 v[46:47], v[46:47], s[14:15], -v[82:83]
	v_add_f64 v[68:69], v[119:120], v[76:77]
	v_add_f64 v[72:73], v[119:120], -v[76:77]
	v_add_f64 v[76:77], v[96:97], v[58:59]
	v_add_f64 v[78:79], v[106:107], v[94:95]
	;; [unrolled: 1-line block ×4, first 2 shown]
	v_mul_u32_u24_e32 v109, 10, v108
	v_lshl_add_u32 v109, v109, 4, 0
	v_add_f64 v[80:81], v[96:97], -v[58:59]
	v_add_f64 v[82:83], v[106:107], -v[94:95]
	;; [unrolled: 1-line block ×4, first 2 shown]
	v_add_f64 v[92:93], v[52:53], v[50:51]
	v_add_f64 v[94:95], v[54:55], v[46:47]
	v_add_f64 v[96:97], v[52:53], -v[50:51]
	v_add_f64 v[98:99], v[54:55], -v[46:47]
	ds_read_b128 v[100:103], v125 offset:5040
	ds_read_b128 v[40:43], v125 offset:6480
	ds_read_b128 v[104:107], v125 offset:12240
	ds_read_b128 v[44:47], v125 offset:13680
	ds_read_b128 v[115:118], v125 offset:19440
	ds_read_b128 v[48:51], v125 offset:20880
	ds_read_b128 v[119:122], v125 offset:26640
	ds_read_b128 v[52:55], v125 offset:28080
	ds_read_b128 v[126:129], v125 offset:33840
	ds_read_b128 v[56:59], v125 offset:35280
	s_waitcnt lgkmcnt(0)
	s_barrier
	ds_write_b128 v109, v[60:63]
	ds_write_b128 v109, v[68:71] offset:16
	ds_write_b128 v109, v[76:79] offset:32
	;; [unrolled: 1-line block ×3, first 2 shown]
	v_add_f64 v[60:61], v[8:9], v[28:29]
	v_add_f64 v[62:63], v[10:11], v[30:31]
	ds_write_b128 v109, v[92:95] offset:64
	ds_write_b128 v109, v[64:67] offset:80
	;; [unrolled: 1-line block ×6, first 2 shown]
	v_add_f64 v[66:67], v[34:35], -v[26:27]
	v_add_f64 v[68:69], v[28:29], -v[32:33]
	v_add_f64 v[70:71], v[32:33], -v[28:29]
	v_add_f64 v[72:73], v[34:35], v[26:27]
	v_add_f64 v[74:75], v[30:31], -v[34:35]
	v_add_f64 v[60:61], v[60:61], v[32:33]
	v_add_f64 v[62:63], v[62:63], v[34:35]
	v_add_f64 v[34:35], v[34:35], -v[30:31]
	v_add_f64 v[76:77], v[30:31], -v[38:39]
	v_add_f64 v[78:79], v[28:29], v[36:37]
	v_add_f64 v[80:81], v[28:29], -v[36:37]
	v_add_f64 v[28:29], v[30:31], v[38:39]
	v_add_f64 v[82:83], v[102:103], v[106:107]
	;; [unrolled: 1-line block ×6, first 2 shown]
	v_add_f64 v[32:33], v[32:33], -v[24:25]
	v_add_f64 v[84:85], v[36:37], -v[24:25]
	;; [unrolled: 1-line block ×5, first 2 shown]
	v_add_f64 v[30:31], v[30:31], v[36:37]
	v_add_f64 v[36:37], v[60:61], v[38:39]
	;; [unrolled: 1-line block ×5, first 2 shown]
	v_add_f64 v[82:83], v[117:118], -v[121:122]
	v_add_f64 v[92:93], v[117:118], v[121:122]
	v_add_f64 v[94:95], v[106:107], -v[117:118]
	v_add_f64 v[96:97], v[117:118], -v[106:107]
	;; [unrolled: 1-line block ×3, first 2 shown]
	v_add_f64 v[98:99], v[104:105], v[126:127]
	v_add_f64 v[106:107], v[106:107], v[128:129]
	;; [unrolled: 1-line block ×4, first 2 shown]
	v_fma_f64 v[62:63], v[62:63], -0.5, v[100:101]
	v_add_f64 v[88:89], v[104:105], -v[115:116]
	v_add_f64 v[90:91], v[115:116], -v[104:105]
	;; [unrolled: 1-line block ×5, first 2 shown]
	v_fma_f64 v[130:131], v[92:93], -0.5, v[102:103]
	v_add_f64 v[92:93], v[128:129], -v[121:122]
	v_add_f64 v[121:122], v[121:122], -v[128:129]
	v_add_f64 v[38:39], v[38:39], v[126:127]
	v_add_f64 v[60:61], v[60:61], v[128:129]
	v_fma_f64 v[64:65], v[64:65], -0.5, v[8:9]
	v_fma_f64 v[78:79], v[78:79], -0.5, v[8:9]
	v_fma_f64 v[8:9], v[117:118], s[2:3], v[62:63]
	v_fma_f64 v[128:129], v[28:29], -0.5, v[10:11]
	v_fma_f64 v[28:29], v[98:99], -0.5, v[100:101]
	;; [unrolled: 1-line block ×3, first 2 shown]
	v_add_f64 v[119:120], v[119:120], -v[126:127]
	v_fma_f64 v[126:127], v[104:105], s[4:5], v[130:131]
	v_fma_f64 v[72:73], v[72:73], -0.5, v[10:11]
	v_add_f64 v[88:89], v[88:89], v[123:124]
	v_add_f64 v[102:103], v[94:95], v[92:93]
	v_fma_f64 v[100:101], v[82:83], s[10:11], v[8:9]
	v_add_f64 v[8:9], v[30:31], v[38:39]
	v_add_f64 v[10:11], v[36:37], v[60:61]
	v_add_f64 v[92:93], v[30:31], -v[38:39]
	v_add_f64 v[94:95], v[36:37], -v[60:61]
	v_fma_f64 v[30:31], v[115:116], s[2:3], v[98:99]
	v_fma_f64 v[36:37], v[82:83], s[4:5], v[28:29]
	;; [unrolled: 1-line block ×4, first 2 shown]
	v_add_f64 v[90:91], v[90:91], v[119:120]
	v_add_f64 v[119:120], v[96:97], v[121:122]
	v_fma_f64 v[100:101], v[76:77], s[2:3], v[64:65]
	v_add_f64 v[68:69], v[68:69], v[84:85]
	v_fma_f64 v[30:31], v[104:105], s[14:15], v[30:31]
	v_fma_f64 v[36:37], v[117:118], s[10:11], v[36:37]
	;; [unrolled: 1-line block ×4, first 2 shown]
	v_mul_f64 v[96:97], v[38:39], s[16:17]
	v_mul_f64 v[38:39], v[38:39], s[14:15]
	v_add_f64 v[74:75], v[74:75], v[86:87]
	v_fma_f64 v[84:85], v[66:67], s[10:11], v[100:101]
	v_fma_f64 v[30:31], v[119:120], s[6:7], v[30:31]
	;; [unrolled: 1-line block ×9, first 2 shown]
	v_mul_f64 v[106:107], v[30:31], s[2:3]
	v_mul_f64 v[121:122], v[36:37], s[4:5]
	v_add_f64 v[70:71], v[70:71], v[24:25]
	v_fma_f64 v[86:87], v[74:75], s[6:7], v[86:87]
	v_add_f64 v[34:35], v[34:35], v[26:27]
	v_fma_f64 v[100:101], v[80:81], s[14:15], v[100:101]
	v_fma_f64 v[60:61], v[76:77], s[10:11], v[60:61]
	v_add_f64 v[24:25], v[84:85], v[96:97]
	v_fma_f64 v[36:37], v[36:37], s[6:7], v[106:107]
	v_fma_f64 v[106:107], v[30:31], s[6:7], v[121:122]
	;; [unrolled: 1-line block ×3, first 2 shown]
	v_add_f64 v[26:27], v[86:87], v[38:39]
	v_fma_f64 v[28:29], v[82:83], s[2:3], v[28:29]
	v_add_f64 v[96:97], v[84:85], -v[96:97]
	v_fma_f64 v[60:61], v[70:71], s[6:7], v[60:61]
	v_fma_f64 v[62:63], v[117:118], s[4:5], v[62:63]
	;; [unrolled: 1-line block ×3, first 2 shown]
	v_add_f64 v[98:99], v[86:87], -v[38:39]
	v_fma_f64 v[86:87], v[104:105], s[10:11], v[30:31]
	v_fma_f64 v[121:122], v[34:35], s[6:7], v[100:101]
	;; [unrolled: 1-line block ×4, first 2 shown]
	v_add_f64 v[28:29], v[60:61], v[36:37]
	v_add_f64 v[100:101], v[60:61], -v[36:37]
	v_fma_f64 v[36:37], v[82:83], s[14:15], v[62:63]
	v_fma_f64 v[60:61], v[115:116], s[10:11], v[84:85]
	;; [unrolled: 1-line block ×12, first 2 shown]
	v_mul_f64 v[80:81], v[82:83], s[6:7]
	v_fma_f64 v[32:33], v[32:33], s[10:11], v[72:73]
	v_mul_f64 v[78:79], v[38:39], s[6:7]
	v_fma_f64 v[64:65], v[68:69], s[6:7], v[64:65]
	v_mul_f64 v[66:67], v[36:37], s[16:17]
	v_mul_f64 v[72:73], v[60:61], s[16:17]
	v_add_f64 v[30:31], v[121:122], v[106:107]
	v_fma_f64 v[34:35], v[34:35], s[6:7], v[76:77]
	v_fma_f64 v[38:39], v[38:39], s[4:5], -v[80:81]
	v_fma_f64 v[68:69], v[74:75], s[6:7], v[32:33]
	v_add_f64 v[32:33], v[12:13], v[16:17]
	v_fma_f64 v[62:63], v[70:71], s[6:7], v[62:63]
	v_fma_f64 v[70:71], v[82:83], s[2:3], -v[78:79]
	v_fma_f64 v[60:61], v[60:61], s[10:11], -v[66:67]
	;; [unrolled: 1-line block ×3, first 2 shown]
	v_add_f64 v[102:103], v[121:122], -v[106:107]
	v_add_f64 v[106:107], v[34:35], v[38:39]
	v_add_f64 v[117:118], v[34:35], -v[38:39]
	v_fma_f64 v[34:35], v[32:33], -0.5, v[0:1]
	v_add_f64 v[32:33], v[6:7], -v[22:23]
	v_add_f64 v[104:105], v[62:63], v[70:71]
	v_add_f64 v[115:116], v[62:63], -v[70:71]
	v_add_f64 v[119:120], v[64:65], v[60:61]
	v_add_f64 v[121:122], v[68:69], v[36:37]
	v_add_f64 v[126:127], v[64:65], -v[60:61]
	v_add_f64 v[128:129], v[68:69], -v[36:37]
	v_add_f64 v[38:39], v[14:15], v[18:19]
	v_add_f64 v[60:61], v[4:5], -v[12:13]
	v_add_f64 v[62:63], v[20:21], -v[16:17]
	v_fma_f64 v[64:65], v[32:33], s[2:3], v[34:35]
	v_add_f64 v[36:37], v[14:15], -v[18:19]
	v_fma_f64 v[34:35], v[32:33], s[4:5], v[34:35]
	v_mul_i32_i24_e32 v66, 10, v112
	v_lshl_add_u32 v109, v66, 4, 0
	ds_write_b128 v109, v[8:11]
	v_fma_f64 v[8:9], v[38:39], -0.5, v[2:3]
	v_add_f64 v[38:39], v[4:5], -v[20:21]
	ds_write_b128 v109, v[24:27] offset:16
	v_add_f64 v[10:11], v[60:61], v[62:63]
	v_fma_f64 v[24:25], v[36:37], s[10:11], v[64:65]
	v_fma_f64 v[26:27], v[36:37], s[14:15], v[34:35]
	v_add_f64 v[62:63], v[6:7], -v[14:15]
	v_add_f64 v[66:67], v[48:49], v[52:53]
	v_add_f64 v[70:71], v[22:23], -v[18:19]
	v_add_f64 v[74:75], v[50:51], v[54:55]
	v_fma_f64 v[72:73], v[38:39], s[4:5], v[8:9]
	v_add_f64 v[64:65], v[12:13], -v[16:17]
	v_fma_f64 v[34:35], v[10:11], s[6:7], v[24:25]
	v_fma_f64 v[8:9], v[38:39], s[2:3], v[8:9]
	;; [unrolled: 1-line block ×3, first 2 shown]
	v_fma_f64 v[10:11], v[66:67], -0.5, v[40:41]
	v_add_f64 v[68:69], v[46:47], -v[58:59]
	v_add_f64 v[24:25], v[62:63], v[70:71]
	v_fma_f64 v[70:71], v[74:75], -0.5, v[42:43]
	v_add_f64 v[74:75], v[44:45], -v[56:57]
	v_fma_f64 v[26:27], v[64:65], s[14:15], v[72:73]
	v_fma_f64 v[8:9], v[64:65], s[10:11], v[8:9]
	v_add_f64 v[72:73], v[44:45], -v[48:49]
	v_add_f64 v[76:77], v[56:57], -v[52:53]
	v_fma_f64 v[78:79], v[68:69], s[4:5], v[10:11]
	v_add_f64 v[82:83], v[50:51], -v[54:55]
	v_add_f64 v[80:81], v[46:47], -v[50:51]
	;; [unrolled: 1-line block ×3, first 2 shown]
	v_fma_f64 v[88:89], v[74:75], s[2:3], v[70:71]
	v_add_f64 v[84:85], v[48:49], -v[52:53]
	v_fma_f64 v[10:11], v[68:69], s[2:3], v[10:11]
	v_fma_f64 v[62:63], v[24:25], s[6:7], v[26:27]
	v_fma_f64 v[66:67], v[24:25], s[6:7], v[8:9]
	v_add_f64 v[8:9], v[72:73], v[76:77]
	v_fma_f64 v[24:25], v[82:83], s[14:15], v[78:79]
	v_fma_f64 v[26:27], v[74:75], s[4:5], v[70:71]
	v_add_f64 v[70:71], v[80:81], v[86:87]
	v_fma_f64 v[72:73], v[84:85], s[10:11], v[88:89]
	v_add_f64 v[76:77], v[0:1], v[4:5]
	v_add_f64 v[78:79], v[2:3], v[6:7]
	;; [unrolled: 1-line block ×4, first 2 shown]
	v_fma_f64 v[10:11], v[82:83], s[10:11], v[10:11]
	v_fma_f64 v[26:27], v[84:85], s[14:15], v[26:27]
	;; [unrolled: 1-line block ×4, first 2 shown]
	v_add_f64 v[76:77], v[76:77], v[12:13]
	v_add_f64 v[78:79], v[78:79], v[14:15]
	;; [unrolled: 1-line block ×4, first 2 shown]
	v_fma_f64 v[8:9], v[8:9], s[6:7], v[10:11]
	v_fma_f64 v[10:11], v[70:71], s[6:7], v[26:27]
	v_mul_f64 v[26:27], v[24:25], s[16:17]
	v_mul_f64 v[70:71], v[72:73], s[16:17]
	v_add_f64 v[76:77], v[76:77], v[16:17]
	v_add_f64 v[78:79], v[78:79], v[18:19]
	;; [unrolled: 1-line block ×4, first 2 shown]
	v_mul_f64 v[123:124], v[8:9], s[16:17]
	v_mul_f64 v[8:9], v[8:9], s[14:15]
	v_fma_f64 v[88:89], v[72:73], s[10:11], -v[26:27]
	v_fma_f64 v[90:91], v[24:25], s[14:15], -v[70:71]
	v_add_f64 v[70:71], v[76:77], v[20:21]
	v_add_f64 v[78:79], v[78:79], v[22:23]
	;; [unrolled: 1-line block ×4, first 2 shown]
	v_fma_f64 v[76:77], v[10:11], s[10:11], v[123:124]
	v_fma_f64 v[86:87], v[10:11], s[16:17], v[8:9]
	ds_write_b128 v109, v[28:31] offset:32
	ds_write_b128 v109, v[104:107] offset:48
	v_add_f64 v[8:9], v[60:61], v[88:89]
	v_add_f64 v[10:11], v[66:67], v[90:91]
	v_cmp_gt_u32_e32 vcc, 45, v108
	v_add_f64 v[24:25], v[70:71], -v[72:73]
	v_add_f64 v[26:27], v[78:79], -v[80:81]
	;; [unrolled: 1-line block ×4, first 2 shown]
	ds_write_b128 v109, v[119:122] offset:64
	ds_write_b128 v109, v[92:95] offset:80
	;; [unrolled: 1-line block ×6, first 2 shown]
	s_and_saveexec_b64 s[16:17], vcc
	s_cbranch_execz .LBB0_15
; %bb.14:
	v_add_f64 v[94:95], v[44:45], v[56:57]
	v_add_f64 v[92:93], v[46:47], v[58:59]
	v_add_f64 v[14:15], v[14:15], -v[6:7]
	v_add_f64 v[18:19], v[18:19], -v[22:23]
	v_add_f64 v[6:7], v[6:7], v[22:23]
	v_add_f64 v[22:23], v[48:49], -v[44:45]
	v_add_f64 v[44:45], v[52:53], -v[56:57]
	;; [unrolled: 1-line block ×3, first 2 shown]
	v_fma_f64 v[40:41], v[94:95], -0.5, v[40:41]
	v_fma_f64 v[42:43], v[92:93], -0.5, v[42:43]
	v_add_f64 v[48:49], v[54:55], -v[58:59]
	v_add_f64 v[12:13], v[12:13], -v[4:5]
	;; [unrolled: 1-line block ×3, first 2 shown]
	v_add_f64 v[4:5], v[4:5], v[20:21]
	v_fma_f64 v[2:3], v[6:7], -0.5, v[2:3]
	v_add_f64 v[6:7], v[22:23], v[44:45]
	v_fma_f64 v[50:51], v[82:83], s[4:5], v[40:41]
	v_fma_f64 v[22:23], v[82:83], s[2:3], v[40:41]
	;; [unrolled: 1-line block ×4, first 2 shown]
	v_add_f64 v[14:15], v[14:15], v[18:19]
	v_add_f64 v[18:19], v[46:47], v[48:49]
	v_fma_f64 v[0:1], v[4:5], -0.5, v[0:1]
	v_add_f64 v[4:5], v[12:13], v[16:17]
	v_fma_f64 v[42:43], v[68:69], s[10:11], v[50:51]
	v_fma_f64 v[16:17], v[68:69], s[14:15], v[22:23]
	;; [unrolled: 1-line block ×6, first 2 shown]
	v_add_f64 v[34:35], v[34:35], v[76:77]
	v_fma_f64 v[40:41], v[6:7], s[6:7], v[42:43]
	v_fma_f64 v[42:43], v[36:37], s[2:3], v[0:1]
	;; [unrolled: 1-line block ×8, first 2 shown]
	v_mul_f64 v[22:23], v[40:41], s[4:5]
	v_fma_f64 v[36:37], v[32:33], s[14:15], v[42:43]
	v_fma_f64 v[32:33], v[32:33], s[10:11], v[0:1]
	v_add_f64 v[0:1], v[60:61], -v[88:89]
	v_mul_f64 v[42:43], v[16:17], s[2:3]
	v_mul_f64 v[18:19], v[20:21], s[6:7]
	v_fma_f64 v[12:13], v[14:15], s[6:7], v[12:13]
	v_fma_f64 v[38:39], v[14:15], s[6:7], v[2:3]
	v_mul_f64 v[14:15], v[6:7], s[6:7]
	v_fma_f64 v[16:17], v[16:17], s[6:7], v[22:23]
	v_fma_f64 v[32:33], v[4:5], s[6:7], v[32:33]
	;; [unrolled: 1-line block ×4, first 2 shown]
	v_fma_f64 v[18:19], v[6:7], s[4:5], -v[18:19]
	v_add_f64 v[40:41], v[78:79], v[80:81]
	v_add_f64 v[36:37], v[62:63], v[86:87]
	v_fma_f64 v[4:5], v[20:21], s[2:3], -v[14:15]
	v_add_f64 v[14:15], v[38:39], -v[16:17]
	v_add_f64 v[22:23], v[38:39], v[16:17]
	v_add_f64 v[38:39], v[70:71], v[72:73]
	;; [unrolled: 1-line block ×3, first 2 shown]
	v_add_f64 v[6:7], v[12:13], -v[18:19]
	v_add_f64 v[18:19], v[12:13], v[18:19]
	v_add_f64 v[12:13], v[32:33], -v[42:43]
	v_add_f64 v[16:17], v[44:45], v[4:5]
	v_mul_i32_i24_e32 v32, 10, v114
	v_lshl_add_u32 v32, v32, 4, 0
	v_add_f64 v[2:3], v[66:67], -v[90:91]
	v_add_f64 v[4:5], v[44:45], -v[4:5]
	ds_write_b128 v32, v[38:41]
	ds_write_b128 v32, v[34:37] offset:16
	ds_write_b128 v32, v[20:23] offset:32
	;; [unrolled: 1-line block ×9, first 2 shown]
.LBB0_15:
	s_or_b64 exec, exec, s[16:17]
	s_movk_i32 s2, 0xff70
	v_mad_i32_i24 v0, v112, s2, v109
	s_waitcnt lgkmcnt(0)
	s_barrier
	v_lshl_add_u32 v126, v114, 4, 0
	ds_read_b128 v[36:39], v0
	ds_read_b128 v[32:35], v126
	ds_read_b128 v[92:95], v125 offset:13440
	ds_read_b128 v[84:87], v125 offset:14880
	;; [unrolled: 1-line block ×20, first 2 shown]
	ds_read_b128 v[40:43], v125
	ds_read_b128 v[44:47], v125 offset:34080
	v_cmp_gt_u32_e64 s[2:3], 30, v108
	s_and_saveexec_b64 s[4:5], s[2:3]
	s_cbranch_execz .LBB0_17
; %bb.16:
	ds_read_b128 v[24:27], v125 offset:23520
	ds_read_b128 v[8:11], v125 offset:11520
	ds_read_b128 v[28:31], v125 offset:35520
.LBB0_17:
	s_or_b64 exec, exec, s[4:5]
	s_movk_i32 s4, 0xcd
	v_mul_lo_u16_sdwa v113, v108, s4 dst_sel:DWORD dst_unused:UNUSED_PAD src0_sel:BYTE_0 src1_sel:DWORD
	v_lshrrev_b16_e32 v115, 11, v113
	v_mul_lo_u16_e32 v113, 10, v115
	v_sub_u16_e32 v119, v108, v113
	v_mov_b32_e32 v113, 5
	v_lshlrev_b32_sdwa v116, v113, v119 dst_sel:DWORD dst_unused:UNUSED_PAD src0_sel:DWORD src1_sel:BYTE_0
	global_load_dwordx4 v[141:144], v116, s[8:9] offset:16
	global_load_dwordx4 v[145:148], v116, s[8:9]
	v_mul_lo_u16_sdwa v116, v112, s4 dst_sel:DWORD dst_unused:UNUSED_PAD src0_sel:BYTE_0 src1_sel:DWORD
	v_lshrrev_b16_e32 v123, 11, v116
	v_mul_lo_u16_e32 v116, 10, v123
	v_sub_u16_e32 v124, v112, v116
	v_lshlrev_b32_sdwa v113, v113, v124 dst_sel:DWORD dst_unused:UNUSED_PAD src0_sel:DWORD src1_sel:BYTE_0
	s_mov_b32 s4, 0xcccd
	global_load_dwordx4 v[149:152], v113, s[8:9] offset:16
	global_load_dwordx4 v[153:156], v113, s[8:9]
	v_mul_u32_u24_sdwa v113, v114, s4 dst_sel:DWORD dst_unused:UNUSED_PAD src0_sel:WORD_0 src1_sel:DWORD
	v_lshrrev_b32_e32 v127, 19, v113
	v_mul_lo_u16_e32 v113, 10, v127
	v_sub_u16_e32 v128, v114, v113
	v_add_u32_e32 v118, 0x10e, v108
	v_lshlrev_b32_e32 v113, 5, v128
	global_load_dwordx4 v[157:160], v113, s[8:9] offset:16
	global_load_dwordx4 v[161:164], v113, s[8:9]
	v_mul_u32_u24_sdwa v113, v118, s4 dst_sel:DWORD dst_unused:UNUSED_PAD src0_sel:WORD_0 src1_sel:DWORD
	v_lshrrev_b32_e32 v129, 19, v113
	v_mul_lo_u16_e32 v113, 10, v129
	v_sub_u16_e32 v130, v118, v113
	v_lshlrev_b32_e32 v113, 5, v130
	v_add_u32_e32 v122, 0x168, v108
	global_load_dwordx4 v[165:168], v113, s[8:9]
	global_load_dwordx4 v[169:172], v113, s[8:9] offset:16
	v_mul_u32_u24_sdwa v113, v122, s4 dst_sel:DWORD dst_unused:UNUSED_PAD src0_sel:WORD_0 src1_sel:DWORD
	v_lshrrev_b32_e32 v131, 19, v113
	v_mul_lo_u16_e32 v113, 10, v131
	v_sub_u16_e32 v132, v122, v113
	v_add_u32_e32 v121, 0x1c2, v108
	v_lshlrev_b32_e32 v113, 5, v132
	global_load_dwordx4 v[173:176], v113, s[8:9] offset:16
	global_load_dwordx4 v[177:180], v113, s[8:9]
	v_mul_u32_u24_sdwa v113, v121, s4 dst_sel:DWORD dst_unused:UNUSED_PAD src0_sel:WORD_0 src1_sel:DWORD
	v_lshrrev_b32_e32 v133, 19, v113
	v_mul_lo_u16_e32 v113, 10, v133
	v_sub_u16_e32 v134, v121, v113
	v_lshlrev_b32_e32 v113, 5, v134
	v_add_u32_e32 v120, 0x21c, v108
	global_load_dwordx4 v[181:184], v113, s[8:9]
	global_load_dwordx4 v[185:188], v113, s[8:9] offset:16
	v_mul_u32_u24_sdwa v113, v120, s4 dst_sel:DWORD dst_unused:UNUSED_PAD src0_sel:WORD_0 src1_sel:DWORD
	v_lshrrev_b32_e32 v135, 19, v113
	v_mul_lo_u16_e32 v113, 10, v135
	v_sub_u16_e32 v136, v120, v113
	v_lshlrev_b32_e32 v113, 5, v136
	global_load_dwordx4 v[189:192], v113, s[8:9] offset:16
	global_load_dwordx4 v[193:196], v113, s[8:9]
	v_add_u32_e32 v117, 0x276, v108
	v_mul_u32_u24_sdwa v113, v117, s4 dst_sel:DWORD dst_unused:UNUSED_PAD src0_sel:WORD_0 src1_sel:DWORD
	v_lshrrev_b32_e32 v137, 19, v113
	v_mul_lo_u16_e32 v113, 10, v137
	v_sub_u16_e32 v140, v117, v113
	v_lshlrev_b32_e32 v113, 5, v140
	global_load_dwordx4 v[197:200], v113, s[8:9]
	global_load_dwordx4 v[201:204], v113, s[8:9] offset:16
	v_add_u32_e32 v116, 0x2d0, v108
	v_mul_u32_u24_sdwa v113, v116, s4 dst_sel:DWORD dst_unused:UNUSED_PAD src0_sel:WORD_0 src1_sel:DWORD
	v_lshrrev_b32_e32 v138, 19, v113
	v_mul_lo_u16_e32 v113, 10, v138
	v_sub_u16_e32 v139, v116, v113
	v_lshlrev_b32_e32 v113, 5, v139
	global_load_dwordx4 v[205:208], v113, s[8:9]
	global_load_dwordx4 v[209:212], v113, s[8:9] offset:16
	s_mov_b32 s4, 0xe8584caa
	s_mov_b32 s5, 0x3febb67a
	;; [unrolled: 1-line block ×4, first 2 shown]
	s_waitcnt vmcnt(0) lgkmcnt(0)
	s_barrier
	v_mul_i32_i24_e32 v113, 0xffffff70, v112
	v_mul_f64 v[215:216], v[106:107], v[143:144]
	v_mul_f64 v[213:214], v[102:103], v[147:148]
	;; [unrolled: 1-line block ×6, first 2 shown]
	v_fma_f64 v[100:101], v[100:101], v[145:146], -v[213:214]
	v_fma_f64 v[102:103], v[102:103], v[145:146], v[147:148]
	v_fma_f64 v[104:105], v[104:105], v[141:142], -v[215:216]
	v_fma_f64 v[106:107], v[106:107], v[141:142], v[143:144]
	v_mul_f64 v[217:218], v[94:95], v[155:156]
	v_mul_f64 v[155:156], v[92:93], v[155:156]
	v_fma_f64 v[96:97], v[96:97], v[149:150], -v[219:220]
	v_fma_f64 v[98:99], v[98:99], v[149:150], v[151:152]
	v_mul_f64 v[223:224], v[82:83], v[159:160]
	v_mul_f64 v[159:160], v[80:81], v[159:160]
	;; [unrolled: 1-line block ×8, first 2 shown]
	v_fma_f64 v[94:95], v[94:95], v[153:154], v[155:156]
	v_fma_f64 v[82:83], v[82:83], v[157:158], v[159:160]
	v_fma_f64 v[84:85], v[84:85], v[161:162], -v[221:222]
	v_mul_f64 v[149:150], v[64:65], v[175:176]
	v_mul_f64 v[145:146], v[70:71], v[179:180]
	;; [unrolled: 1-line block ×3, first 2 shown]
	v_fma_f64 v[76:77], v[76:77], v[169:170], -v[141:142]
	v_mul_f64 v[141:142], v[66:67], v[175:176]
	v_fma_f64 v[143:144], v[78:79], v[169:170], v[143:144]
	v_fma_f64 v[86:87], v[86:87], v[161:162], v[163:164]
	v_mul_f64 v[151:152], v[74:75], v[183:184]
	v_fma_f64 v[149:150], v[66:67], v[173:174], v[149:150]
	v_fma_f64 v[145:146], v[68:69], v[177:178], -v[145:146]
	v_mul_f64 v[68:69], v[62:63], v[187:188]
	v_mul_f64 v[78:79], v[72:73], v[183:184]
	v_fma_f64 v[147:148], v[70:71], v[177:178], v[147:148]
	v_fma_f64 v[141:142], v[64:65], v[173:174], -v[141:142]
	v_mul_f64 v[66:67], v[54:55], v[195:196]
	v_fma_f64 v[151:152], v[72:73], v[181:182], -v[151:152]
	v_mul_f64 v[64:65], v[60:61], v[187:188]
	v_mul_f64 v[70:71], v[52:53], v[195:196]
	v_fma_f64 v[155:156], v[60:61], v[185:186], -v[68:69]
	v_mul_f64 v[60:61], v[50:51], v[191:192]
	v_mul_f64 v[68:69], v[48:49], v[191:192]
	v_mul_f64 v[72:73], v[58:59], v[199:200]
	v_fma_f64 v[159:160], v[52:53], v[193:194], -v[66:67]
	v_mul_f64 v[52:53], v[46:47], v[203:204]
	v_fma_f64 v[80:81], v[80:81], v[157:158], -v[223:224]
	v_fma_f64 v[88:89], v[88:89], v[165:166], -v[225:226]
	v_fma_f64 v[90:91], v[90:91], v[165:166], v[167:168]
	v_fma_f64 v[157:158], v[62:63], v[185:186], v[64:65]
	v_mul_f64 v[62:63], v[56:57], v[199:200]
	v_fma_f64 v[161:162], v[54:55], v[193:194], v[70:71]
	v_fma_f64 v[163:164], v[48:49], v[189:190], -v[60:61]
	v_fma_f64 v[165:166], v[50:51], v[189:190], v[68:69]
	v_fma_f64 v[167:168], v[56:57], v[197:198], -v[72:73]
	v_mul_f64 v[48:49], v[44:45], v[203:204]
	v_mul_f64 v[50:51], v[26:27], v[207:208]
	v_add_f64 v[54:55], v[100:101], v[104:105]
	v_fma_f64 v[171:172], v[44:45], v[201:202], -v[52:53]
	v_mul_f64 v[44:45], v[24:25], v[207:208]
	v_mul_f64 v[52:53], v[30:31], v[211:212]
	;; [unrolled: 1-line block ×3, first 2 shown]
	v_fma_f64 v[92:93], v[92:93], v[153:154], -v[217:218]
	v_fma_f64 v[173:174], v[46:47], v[201:202], v[48:49]
	v_add_f64 v[46:47], v[40:41], v[100:101]
	v_fma_f64 v[24:25], v[24:25], v[205:206], -v[50:51]
	v_fma_f64 v[50:51], v[54:55], -0.5, v[40:41]
	v_fma_f64 v[40:41], v[26:27], v[205:206], v[44:45]
	v_fma_f64 v[26:27], v[28:29], v[209:210], -v[52:53]
	v_fma_f64 v[28:29], v[30:31], v[209:210], v[56:57]
	v_add_f64 v[30:31], v[102:103], v[106:107]
	v_add_f64 v[54:55], v[102:103], -v[106:107]
	v_add_f64 v[44:45], v[46:47], v[104:105]
	v_add_f64 v[46:47], v[42:43], v[102:103]
	v_fma_f64 v[169:170], v[58:59], v[197:198], v[62:63]
	v_add_f64 v[56:57], v[92:93], v[96:97]
	v_add_f64 v[58:59], v[36:37], v[92:93]
	;; [unrolled: 1-line block ×3, first 2 shown]
	v_fma_f64 v[30:31], v[30:31], -0.5, v[42:43]
	v_add_f64 v[42:43], v[100:101], -v[104:105]
	v_fma_f64 v[48:49], v[54:55], s[4:5], v[50:51]
	v_fma_f64 v[52:53], v[54:55], s[6:7], v[50:51]
	v_add_f64 v[62:63], v[94:95], -v[98:99]
	v_fma_f64 v[56:57], v[56:57], -0.5, v[36:37]
	v_add_f64 v[36:37], v[58:59], v[96:97]
	v_add_f64 v[58:59], v[84:85], v[80:81]
	v_fma_f64 v[60:61], v[60:61], -0.5, v[38:39]
	v_fma_f64 v[50:51], v[42:43], s[6:7], v[30:31]
	v_fma_f64 v[54:55], v[42:43], s[4:5], v[30:31]
	v_add_f64 v[42:43], v[38:39], v[94:95]
	v_add_f64 v[64:65], v[92:93], -v[96:97]
	v_fma_f64 v[30:31], v[62:63], s[4:5], v[56:57]
	v_fma_f64 v[56:57], v[62:63], s[6:7], v[56:57]
	v_add_f64 v[62:63], v[32:33], v[84:85]
	v_fma_f64 v[67:68], v[58:59], -0.5, v[32:33]
	v_add_f64 v[69:70], v[86:87], -v[82:83]
	v_add_f64 v[71:72], v[34:35], v[86:87]
	v_add_f64 v[38:39], v[42:43], v[98:99]
	v_add_f64 v[42:43], v[86:87], v[82:83]
	v_fma_f64 v[153:154], v[74:75], v[181:182], v[78:79]
	v_fma_f64 v[32:33], v[64:65], s[6:7], v[60:61]
	;; [unrolled: 1-line block ×3, first 2 shown]
	v_add_f64 v[60:61], v[62:63], v[80:81]
	v_add_f64 v[73:74], v[88:89], v[76:77]
	v_fma_f64 v[65:66], v[69:70], s[4:5], v[67:68]
	v_fma_f64 v[69:70], v[69:70], s[6:7], v[67:68]
	v_fma_f64 v[34:35], v[42:43], -0.5, v[34:35]
	v_add_f64 v[42:43], v[84:85], -v[80:81]
	v_add_f64 v[78:79], v[20:21], v[88:89]
	v_add_f64 v[62:63], v[71:72], v[82:83]
	;; [unrolled: 1-line block ×3, first 2 shown]
	v_fma_f64 v[82:83], v[73:74], -0.5, v[20:21]
	v_add_f64 v[84:85], v[90:91], -v[143:144]
	v_add_f64 v[86:87], v[88:89], -v[76:77]
	v_add_f64 v[93:94], v[12:13], v[151:152]
	v_fma_f64 v[67:68], v[42:43], s[6:7], v[34:35]
	v_fma_f64 v[71:72], v[42:43], s[4:5], v[34:35]
	v_add_f64 v[34:35], v[22:23], v[90:91]
	v_add_f64 v[20:21], v[78:79], v[76:77]
	;; [unrolled: 1-line block ×3, first 2 shown]
	v_fma_f64 v[79:80], v[80:81], -0.5, v[22:23]
	v_fma_f64 v[73:74], v[84:85], s[4:5], v[82:83]
	v_fma_f64 v[77:78], v[84:85], s[6:7], v[82:83]
	v_add_f64 v[81:82], v[16:17], v[145:146]
	v_add_f64 v[83:84], v[147:148], -v[149:150]
	v_add_f64 v[22:23], v[34:35], v[143:144]
	v_add_f64 v[34:35], v[147:148], v[149:150]
	v_fma_f64 v[42:43], v[42:43], -0.5, v[16:17]
	v_fma_f64 v[75:76], v[86:87], s[6:7], v[79:80]
	v_fma_f64 v[79:80], v[86:87], s[4:5], v[79:80]
	v_add_f64 v[87:88], v[18:19], v[147:148]
	v_add_f64 v[89:90], v[151:152], v[155:156]
	v_add_f64 v[91:92], v[145:146], -v[141:142]
	v_add_f64 v[16:17], v[81:82], v[141:142]
	v_fma_f64 v[34:35], v[34:35], -0.5, v[18:19]
	v_fma_f64 v[81:82], v[83:84], s[4:5], v[42:43]
	v_fma_f64 v[85:86], v[83:84], s[6:7], v[42:43]
	v_add_f64 v[42:43], v[153:154], v[157:158]
	v_add_f64 v[18:19], v[87:88], v[149:150]
	v_fma_f64 v[95:96], v[89:90], -0.5, v[12:13]
	v_add_f64 v[97:98], v[153:154], -v[157:158]
	v_add_f64 v[12:13], v[93:94], v[155:156]
	v_fma_f64 v[83:84], v[91:92], s[6:7], v[34:35]
	v_fma_f64 v[87:88], v[91:92], s[4:5], v[34:35]
	v_add_f64 v[34:35], v[159:160], v[163:164]
	v_add_f64 v[91:92], v[14:15], v[153:154]
	v_fma_f64 v[42:43], v[42:43], -0.5, v[14:15]
	v_add_f64 v[99:100], v[151:152], -v[155:156]
	v_fma_f64 v[89:90], v[97:98], s[4:5], v[95:96]
	v_add_f64 v[101:102], v[161:162], v[165:166]
	v_fma_f64 v[93:94], v[97:98], s[6:7], v[95:96]
	v_add_f64 v[97:98], v[4:5], v[159:160]
	v_fma_f64 v[4:5], v[34:35], -0.5, v[4:5]
	v_add_f64 v[34:35], v[161:162], -v[165:166]
	v_add_f64 v[46:47], v[46:47], v[106:107]
	v_add_f64 v[14:15], v[91:92], v[157:158]
	v_fma_f64 v[91:92], v[99:100], s[6:7], v[42:43]
	v_add_f64 v[103:104], v[6:7], v[161:162]
	v_fma_f64 v[6:7], v[101:102], -0.5, v[6:7]
	v_add_f64 v[105:106], v[159:160], -v[163:164]
	v_fma_f64 v[95:96], v[99:100], s[4:5], v[42:43]
	v_fma_f64 v[101:102], v[34:35], s[4:5], v[4:5]
	v_add_f64 v[42:43], v[0:1], v[167:168]
	v_fma_f64 v[141:142], v[34:35], s[6:7], v[4:5]
	v_add_f64 v[34:35], v[169:170], v[173:174]
	v_add_f64 v[4:5], v[167:168], v[171:172]
	;; [unrolled: 1-line block ×3, first 2 shown]
	v_fma_f64 v[103:104], v[105:106], s[6:7], v[6:7]
	v_fma_f64 v[143:144], v[105:106], s[4:5], v[6:7]
	v_add_f64 v[6:7], v[24:25], v[26:27]
	v_add_f64 v[145:146], v[42:43], v[171:172]
	;; [unrolled: 1-line block ×4, first 2 shown]
	v_fma_f64 v[2:3], v[34:35], -0.5, v[2:3]
	v_add_f64 v[34:35], v[167:168], -v[171:172]
	v_mov_b32_e32 v64, 4
	v_fma_f64 v[0:1], v[4:5], -0.5, v[0:1]
	v_add_f64 v[4:5], v[169:170], -v[173:174]
	v_fma_f64 v[6:7], v[6:7], -0.5, v[8:9]
	v_add_f64 v[157:158], v[40:41], -v[28:29]
	;; [unrolled: 2-line block ×3, first 2 shown]
	v_fma_f64 v[151:152], v[34:35], s[6:7], v[2:3]
	v_fma_f64 v[155:156], v[34:35], s[4:5], v[2:3]
	v_mul_u32_u24_e32 v34, 0x1e0, v115
	v_lshlrev_b32_sdwa v35, v64, v119 dst_sel:DWORD dst_unused:UNUSED_PAD src0_sel:DWORD src1_sel:BYTE_0
	v_add3_u32 v34, 0, v34, v35
	ds_write_b128 v34, v[44:47]
	ds_write_b128 v34, v[48:51] offset:160
	ds_write_b128 v34, v[52:55] offset:320
	v_mul_u32_u24_e32 v34, 0x1e0, v123
	v_lshlrev_b32_sdwa v35, v64, v124 dst_sel:DWORD dst_unused:UNUSED_PAD src0_sel:DWORD src1_sel:BYTE_0
	v_add3_u32 v34, 0, v34, v35
	ds_write_b128 v34, v[36:39]
	ds_write_b128 v34, v[30:33] offset:160
	ds_write_b128 v34, v[56:59] offset:320
	v_mul_u32_u24_e32 v30, 0x1e0, v127
	v_lshlrev_b32_e32 v31, 4, v128
	v_add3_u32 v30, 0, v30, v31
	v_add_f64 v[97:98], v[97:98], v[163:164]
	ds_write_b128 v30, v[60:63]
	ds_write_b128 v30, v[65:68] offset:160
	ds_write_b128 v30, v[69:72] offset:320
	v_mul_u32_u24_e32 v30, 0x1e0, v129
	v_lshlrev_b32_e32 v31, 4, v130
	v_add3_u32 v30, 0, v30, v31
	v_fma_f64 v[149:150], v[4:5], s[4:5], v[0:1]
	v_fma_f64 v[153:154], v[4:5], s[6:7], v[0:1]
	v_add_f64 v[147:148], v[105:106], v[173:174]
	v_fma_f64 v[0:1], v[157:158], s[4:5], v[6:7]
	v_fma_f64 v[4:5], v[157:158], s[6:7], v[6:7]
	;; [unrolled: 1-line block ×4, first 2 shown]
	ds_write_b128 v30, v[20:23]
	ds_write_b128 v30, v[73:76] offset:160
	ds_write_b128 v30, v[77:80] offset:320
	v_mul_u32_u24_e32 v20, 0x1e0, v131
	v_lshlrev_b32_e32 v21, 4, v132
	v_add3_u32 v20, 0, v20, v21
	ds_write_b128 v20, v[16:19]
	ds_write_b128 v20, v[81:84] offset:160
	ds_write_b128 v20, v[85:88] offset:320
	v_mul_u32_u24_e32 v16, 0x1e0, v133
	v_lshlrev_b32_e32 v17, 4, v134
	v_add3_u32 v16, 0, v16, v17
	;; [unrolled: 6-line block ×4, first 2 shown]
	ds_write_b128 v12, v[145:148]
	ds_write_b128 v12, v[149:152] offset:160
	ds_write_b128 v12, v[153:156] offset:320
	s_and_saveexec_b64 s[4:5], s[2:3]
	s_cbranch_execz .LBB0_19
; %bb.18:
	v_add_f64 v[10:11], v[10:11], v[40:41]
	v_add_f64 v[8:9], v[8:9], v[24:25]
	v_mul_lo_u16_e32 v12, 30, v138
	v_lshlrev_b32_e32 v13, 4, v139
	v_lshlrev_b32_e32 v12, 4, v12
	v_add3_u32 v12, 0, v13, v12
	v_add_f64 v[10:11], v[10:11], v[28:29]
	v_add_f64 v[8:9], v[8:9], v[26:27]
	ds_write_b128 v12, v[0:3] offset:160
	ds_write_b128 v12, v[8:11]
	ds_write_b128 v12, v[4:7] offset:320
.LBB0_19:
	s_or_b64 exec, exec, s[4:5]
	s_movk_i32 s4, 0x89
	v_mul_lo_u16_sdwa v8, v108, s4 dst_sel:DWORD dst_unused:UNUSED_PAD src0_sel:BYTE_0 src1_sel:DWORD
	v_lshrrev_b16_e32 v65, 12, v8
	v_mul_lo_u16_e32 v8, 30, v65
	v_sub_u16_e32 v66, v108, v8
	v_mov_b32_e32 v8, 6
	v_lshlrev_b32_sdwa v9, v8, v66 dst_sel:DWORD dst_unused:UNUSED_PAD src0_sel:DWORD src1_sel:BYTE_0
	s_waitcnt lgkmcnt(0)
	s_barrier
	global_load_dwordx4 v[16:19], v9, s[8:9] offset:336
	global_load_dwordx4 v[20:23], v9, s[8:9] offset:320
	;; [unrolled: 1-line block ×4, first 2 shown]
	v_mul_lo_u16_sdwa v9, v112, s4 dst_sel:DWORD dst_unused:UNUSED_PAD src0_sel:BYTE_0 src1_sel:DWORD
	v_lshrrev_b16_e32 v67, 12, v9
	v_mul_lo_u16_e32 v9, 30, v67
	v_sub_u16_e32 v68, v112, v9
	v_lshlrev_b32_sdwa v8, v8, v68 dst_sel:DWORD dst_unused:UNUSED_PAD src0_sel:DWORD src1_sel:BYTE_0
	global_load_dwordx4 v[32:35], v8, s[8:9] offset:320
	global_load_dwordx4 v[36:39], v8, s[8:9] offset:336
	;; [unrolled: 1-line block ×4, first 2 shown]
	s_mov_b32 s4, 0x8889
	v_mul_u32_u24_sdwa v8, v114, s4 dst_sel:DWORD dst_unused:UNUSED_PAD src0_sel:WORD_0 src1_sel:DWORD
	v_lshrrev_b32_e32 v69, 20, v8
	v_mul_lo_u16_e32 v8, 30, v69
	v_sub_u16_e32 v70, v114, v8
	v_lshlrev_b32_e32 v8, 6, v70
	global_load_dwordx4 v[48:51], v8, s[8:9] offset:320
	global_load_dwordx4 v[52:55], v8, s[8:9] offset:336
	;; [unrolled: 1-line block ×4, first 2 shown]
	v_mul_u32_u24_sdwa v8, v118, s4 dst_sel:DWORD dst_unused:UNUSED_PAD src0_sel:WORD_0 src1_sel:DWORD
	v_lshrrev_b32_e32 v71, 20, v8
	v_mul_lo_u16_e32 v8, 30, v71
	v_sub_u16_e32 v72, v118, v8
	v_lshlrev_b32_e32 v8, 6, v72
	ds_read_b128 v[75:78], v125 offset:14400
	ds_read_b128 v[79:82], v125 offset:15840
	global_load_dwordx4 v[83:86], v8, s[8:9] offset:336
	global_load_dwordx4 v[87:90], v8, s[8:9] offset:320
	ds_read_b128 v[91:94], v125 offset:28800
	ds_read_b128 v[95:98], v125 offset:30240
	ds_read_b128 v[99:102], v125 offset:8640
	ds_read_b128 v[103:106], v125 offset:10080
	global_load_dwordx4 v[128:131], v8, s[8:9] offset:368
	global_load_dwordx4 v[132:135], v8, s[8:9] offset:352
	v_mul_u32_u24_sdwa v8, v122, s4 dst_sel:DWORD dst_unused:UNUSED_PAD src0_sel:WORD_0 src1_sel:DWORD
	v_lshrrev_b32_e32 v73, 20, v8
	v_mul_lo_u16_e32 v8, 30, v73
	v_sub_u16_e32 v74, v122, v8
	v_lshlrev_b32_e32 v107, 6, v74
	ds_read_b128 v[136:139], v125 offset:23040
	ds_read_b128 v[140:143], v125 offset:24480
	;; [unrolled: 1-line block ×3, first 2 shown]
	global_load_dwordx4 v[148:151], v107, s[8:9] offset:336
	global_load_dwordx4 v[152:155], v107, s[8:9] offset:320
	ds_read_b128 v[156:159], v125
	ds_read_b128 v[12:15], v125 offset:4320
	ds_read_b128 v[160:163], v125 offset:17280
	;; [unrolled: 1-line block ×7, first 2 shown]
	global_load_dwordx4 v[180:183], v107, s[8:9] offset:368
	global_load_dwordx4 v[184:187], v107, s[8:9] offset:352
	v_add_u32_e32 v127, v109, v113
	ds_read_b128 v[188:191], v125 offset:21600
	ds_read_b128 v[192:195], v125 offset:20160
	;; [unrolled: 1-line block ×6, first 2 shown]
	ds_read_b128 v[212:215], v127
	ds_read_b128 v[216:219], v126
	s_mov_b32 s4, 0x134454ff
	s_mov_b32 s5, 0x3fee6f0e
	;; [unrolled: 1-line block ×9, first 2 shown]
	s_waitcnt vmcnt(0) lgkmcnt(0)
	s_barrier
	v_mul_f64 v[220:221], v[77:78], v[18:19]
	v_mul_f64 v[123:124], v[170:171], v[22:23]
	;; [unrolled: 1-line block ×9, first 2 shown]
	v_fma_f64 v[123:124], v[168:169], v[20:21], -v[123:124]
	v_fma_f64 v[22:23], v[170:171], v[20:21], v[22:23]
	v_fma_f64 v[20:21], v[75:76], v[16:17], -v[220:221]
	v_fma_f64 v[18:19], v[77:78], v[16:17], v[18:19]
	v_fma_f64 v[75:76], v[188:189], v[28:29], -v[222:223]
	v_fma_f64 v[30:31], v[190:191], v[28:29], v[30:31]
	v_fma_f64 v[28:29], v[91:92], v[24:25], -v[224:225]
	v_fma_f64 v[26:27], v[93:94], v[24:25], v[26:27]
	v_mul_f64 v[16:17], v[81:82], v[38:39]
	v_mul_f64 v[24:25], v[79:80], v[38:39]
	;; [unrolled: 1-line block ×7, first 2 shown]
	v_fma_f64 v[77:78], v[99:100], v[32:33], -v[226:227]
	v_fma_f64 v[79:80], v[79:80], v[36:37], -v[16:17]
	v_fma_f64 v[81:82], v[81:82], v[36:37], v[24:25]
	v_mul_f64 v[16:17], v[105:106], v[50:51]
	v_mul_f64 v[24:25], v[103:104], v[50:51]
	v_fma_f64 v[93:94], v[101:102], v[32:33], v[34:35]
	v_fma_f64 v[99:100], v[136:137], v[40:41], -v[38:39]
	v_fma_f64 v[101:102], v[138:139], v[40:41], v[42:43]
	v_fma_f64 v[91:92], v[95:96], v[44:45], -v[91:92]
	v_fma_f64 v[95:96], v[97:98], v[44:45], v[46:47]
	v_mul_f64 v[34:35], v[160:161], v[54:55]
	v_mul_f64 v[36:37], v[142:143], v[62:63]
	v_mul_f64 v[38:39], v[140:141], v[62:63]
	v_fma_f64 v[97:98], v[103:104], v[48:49], -v[16:17]
	v_mul_f64 v[16:17], v[146:147], v[58:59]
	v_mul_f64 v[40:41], v[144:145], v[58:59]
	v_fma_f64 v[105:106], v[105:106], v[48:49], v[24:25]
	v_mul_f64 v[24:25], v[174:175], v[89:90]
	v_mul_f64 v[32:33], v[162:163], v[54:55]
	v_fma_f64 v[136:137], v[162:163], v[52:53], v[34:35]
	v_fma_f64 v[138:139], v[140:141], v[60:61], -v[36:37]
	v_fma_f64 v[140:141], v[142:143], v[60:61], v[38:39]
	v_fma_f64 v[142:143], v[144:145], v[56:57], -v[16:17]
	v_fma_f64 v[144:145], v[146:147], v[56:57], v[40:41]
	v_mul_f64 v[16:17], v[172:173], v[89:90]
	v_mul_f64 v[34:35], v[164:165], v[85:86]
	v_fma_f64 v[146:147], v[172:173], v[87:88], -v[24:25]
	v_mul_f64 v[24:25], v[206:207], v[130:131]
	v_fma_f64 v[103:104], v[160:161], v[52:53], -v[32:33]
	v_mul_f64 v[32:33], v[166:167], v[85:86]
	v_mul_f64 v[38:39], v[196:197], v[134:135]
	v_add_f64 v[46:47], v[20:21], v[75:76]
	v_fma_f64 v[50:51], v[174:175], v[87:88], v[16:17]
	v_fma_f64 v[52:53], v[166:167], v[83:84], v[34:35]
	v_mul_f64 v[16:17], v[178:179], v[154:155]
	v_fma_f64 v[160:161], v[204:205], v[128:129], -v[24:25]
	v_mul_f64 v[24:25], v[176:177], v[154:155]
	v_add_f64 v[34:35], v[156:157], v[123:124]
	v_fma_f64 v[60:61], v[164:165], v[83:84], -v[32:33]
	v_fma_f64 v[54:55], v[198:199], v[132:133], v[38:39]
	v_mul_f64 v[32:33], v[194:195], v[150:151]
	v_mul_f64 v[40:41], v[204:205], v[130:131]
	v_fma_f64 v[42:43], v[176:177], v[152:153], -v[16:17]
	v_mul_f64 v[16:17], v[202:203], v[186:187]
	v_fma_f64 v[38:39], v[178:179], v[152:153], v[24:25]
	v_add_f64 v[24:25], v[34:35], v[20:21]
	v_add_f64 v[87:88], v[123:124], v[28:29]
	v_mul_f64 v[36:37], v[198:199], v[134:135]
	v_fma_f64 v[44:45], v[192:193], v[148:149], -v[32:33]
	v_fma_f64 v[32:33], v[46:47], -0.5, v[156:157]
	v_fma_f64 v[56:57], v[206:207], v[128:129], v[40:41]
	v_fma_f64 v[46:47], v[200:201], v[184:185], -v[16:17]
	v_mul_f64 v[16:17], v[210:211], v[182:183]
	v_add_f64 v[24:25], v[24:25], v[75:76]
	v_add_f64 v[34:35], v[22:23], -v[26:27]
	v_add_f64 v[85:86], v[18:19], -v[30:31]
	;; [unrolled: 1-line block ×4, first 2 shown]
	v_fma_f64 v[62:63], v[196:197], v[132:133], -v[36:37]
	v_add_f64 v[130:131], v[20:21], -v[123:124]
	v_fma_f64 v[58:59], v[208:209], v[180:181], -v[16:17]
	v_add_f64 v[16:17], v[24:25], v[28:29]
	v_fma_f64 v[24:25], v[87:88], -0.5, v[156:157]
	v_fma_f64 v[83:84], v[34:35], s[4:5], v[32:33]
	v_fma_f64 v[32:33], v[34:35], s[10:11], v[32:33]
	v_add_f64 v[87:88], v[89:90], v[128:129]
	v_add_f64 v[89:90], v[18:19], v[30:31]
	v_add_f64 v[132:133], v[75:76], -v[28:29]
	v_add_f64 v[123:124], v[123:124], -v[28:29]
	v_add_f64 v[134:135], v[158:159], v[22:23]
	v_fma_f64 v[128:129], v[85:86], s[10:11], v[24:25]
	v_fma_f64 v[83:84], v[85:86], s[6:7], v[83:84]
	;; [unrolled: 1-line block ×4, first 2 shown]
	v_fma_f64 v[89:90], v[89:90], -0.5, v[158:159]
	v_add_f64 v[75:76], v[20:21], -v[75:76]
	v_mul_f64 v[36:37], v[192:193], v[150:151]
	v_add_f64 v[150:151], v[81:82], -v[101:102]
	v_fma_f64 v[85:86], v[34:35], s[6:7], v[128:129]
	v_add_f64 v[128:129], v[130:131], v[132:133]
	v_add_f64 v[130:131], v[22:23], v[26:27]
	v_fma_f64 v[24:25], v[34:35], s[14:15], v[24:25]
	v_fma_f64 v[132:133], v[123:124], s[10:11], v[89:90]
	;; [unrolled: 1-line block ×3, first 2 shown]
	v_add_f64 v[34:35], v[134:135], v[18:19]
	v_fma_f64 v[20:21], v[87:88], s[16:17], v[28:29]
	v_add_f64 v[87:88], v[22:23], -v[18:19]
	v_fma_f64 v[28:29], v[128:129], s[16:17], v[85:86]
	v_fma_f64 v[83:84], v[130:131], -0.5, v[158:159]
	v_fma_f64 v[24:25], v[128:129], s[16:17], v[24:25]
	v_fma_f64 v[85:86], v[75:76], s[14:15], v[132:133]
	v_add_f64 v[128:129], v[79:80], v[99:100]
	v_add_f64 v[130:131], v[26:27], -v[30:31]
	v_fma_f64 v[89:90], v[123:124], s[4:5], v[89:90]
	v_add_f64 v[34:35], v[34:35], v[30:31]
	v_add_f64 v[18:19], v[18:19], -v[22:23]
	v_fma_f64 v[132:133], v[75:76], s[4:5], v[83:84]
	v_add_f64 v[22:23], v[30:31], -v[26:27]
	v_fma_f64 v[30:31], v[75:76], s[10:11], v[83:84]
	v_fma_f64 v[128:129], v[128:129], -0.5, v[212:213]
	v_add_f64 v[134:135], v[93:94], -v[95:96]
	v_add_f64 v[87:88], v[87:88], v[130:131]
	v_fma_f64 v[75:76], v[75:76], s[6:7], v[89:90]
	v_fma_f64 v[40:41], v[194:195], v[148:149], v[36:37]
	;; [unrolled: 1-line block ×3, first 2 shown]
	v_add_f64 v[132:133], v[77:78], v[91:92]
	v_add_f64 v[130:131], v[18:19], v[22:23]
	v_fma_f64 v[123:124], v[123:124], s[6:7], v[30:31]
	v_fma_f64 v[148:149], v[134:135], s[4:5], v[128:129]
	v_add_f64 v[83:84], v[212:213], v[77:78]
	v_fma_f64 v[22:23], v[87:88], s[16:17], v[75:76]
	v_add_f64 v[18:19], v[34:35], v[26:27]
	v_fma_f64 v[34:35], v[87:88], s[16:17], v[85:86]
	v_fma_f64 v[75:76], v[132:133], -0.5, v[212:213]
	v_fma_f64 v[30:31], v[130:131], s[16:17], v[89:90]
	v_fma_f64 v[26:27], v[130:131], s[16:17], v[123:124]
	;; [unrolled: 1-line block ×3, first 2 shown]
	v_add_f64 v[87:88], v[77:78], -v[79:80]
	v_add_f64 v[123:124], v[91:92], -v[99:100]
	v_fma_f64 v[128:129], v[134:135], s[10:11], v[128:129]
	v_add_f64 v[132:133], v[79:80], -v[77:78]
	v_fma_f64 v[130:131], v[150:151], s[10:11], v[75:76]
	;; [unrolled: 2-line block ×3, first 2 shown]
	v_add_f64 v[83:84], v[83:84], v[79:80]
	v_add_f64 v[89:90], v[81:82], v[101:102]
	v_add_f64 v[152:153], v[214:215], v[93:94]
	v_add_f64 v[87:88], v[87:88], v[123:124]
	v_fma_f64 v[123:124], v[150:151], s[14:15], v[128:129]
	v_fma_f64 v[128:129], v[134:135], s[6:7], v[130:131]
	v_add_f64 v[130:131], v[132:133], v[148:149]
	v_fma_f64 v[132:133], v[134:135], s[14:15], v[75:76]
	v_add_f64 v[134:135], v[93:94], v[95:96]
	v_add_f64 v[83:84], v[83:84], v[99:100]
	v_fma_f64 v[89:90], v[89:90], -0.5, v[214:215]
	v_add_f64 v[77:78], v[77:78], -v[91:92]
	v_add_f64 v[148:149], v[152:153], v[81:82]
	v_add_f64 v[99:100], v[79:80], -v[99:100]
	v_fma_f64 v[79:80], v[87:88], s[16:17], v[85:86]
	v_add_f64 v[154:155], v[136:137], -v[140:141]
	v_fma_f64 v[85:86], v[134:135], -0.5, v[214:215]
	v_add_f64 v[75:76], v[83:84], v[91:92]
	v_fma_f64 v[83:84], v[87:88], s[16:17], v[123:124]
	v_fma_f64 v[150:151], v[77:78], s[10:11], v[89:90]
	;; [unrolled: 1-line block ×3, first 2 shown]
	v_add_f64 v[123:124], v[148:149], v[101:102]
	v_add_f64 v[132:133], v[103:104], v[138:139]
	v_fma_f64 v[89:90], v[77:78], s[4:5], v[89:90]
	v_fma_f64 v[148:149], v[99:100], s[4:5], v[85:86]
	;; [unrolled: 1-line block ×3, first 2 shown]
	v_add_f64 v[130:131], v[93:94], -v[81:82]
	v_fma_f64 v[128:129], v[99:100], s[14:15], v[150:151]
	v_add_f64 v[134:135], v[95:96], -v[101:102]
	v_add_f64 v[81:82], v[81:82], -v[93:94]
	;; [unrolled: 1-line block ×3, first 2 shown]
	v_fma_f64 v[85:86], v[99:100], s[10:11], v[85:86]
	v_add_f64 v[101:102], v[216:217], v[97:98]
	v_fma_f64 v[132:133], v[132:133], -0.5, v[216:217]
	v_add_f64 v[150:151], v[105:106], -v[144:145]
	v_fma_f64 v[89:90], v[99:100], s[6:7], v[89:90]
	v_fma_f64 v[99:100], v[77:78], s[14:15], v[148:149]
	v_add_f64 v[148:149], v[97:98], v[142:143]
	v_add_f64 v[130:131], v[130:131], v[134:135]
	;; [unrolled: 1-line block ×3, first 2 shown]
	v_fma_f64 v[134:135], v[77:78], s[6:7], v[85:86]
	v_add_f64 v[101:102], v[101:102], v[103:104]
	v_fma_f64 v[152:153], v[150:151], s[4:5], v[132:133]
	v_add_f64 v[77:78], v[123:124], v[95:96]
	v_add_f64 v[123:124], v[97:98], -v[103:104]
	v_fma_f64 v[95:96], v[148:149], -0.5, v[216:217]
	v_fma_f64 v[81:82], v[130:131], s[16:17], v[128:129]
	v_fma_f64 v[85:86], v[130:131], s[16:17], v[89:90]
	;; [unrolled: 1-line block ×4, first 2 shown]
	v_add_f64 v[99:100], v[101:102], v[138:139]
	v_fma_f64 v[101:102], v[154:155], s[6:7], v[152:153]
	v_add_f64 v[128:129], v[218:219], v[105:106]
	v_add_f64 v[134:135], v[142:143], -v[138:139]
	v_fma_f64 v[132:133], v[150:151], s[10:11], v[132:133]
	v_fma_f64 v[148:149], v[154:155], s[10:11], v[95:96]
	v_add_f64 v[152:153], v[103:104], -v[97:98]
	v_add_f64 v[156:157], v[138:139], -v[142:143]
	v_fma_f64 v[95:96], v[154:155], s[4:5], v[95:96]
	v_add_f64 v[130:131], v[136:137], v[140:141]
	v_add_f64 v[128:129], v[128:129], v[136:137]
	v_add_f64 v[158:159], v[97:98], -v[142:143]
	v_add_f64 v[97:98], v[123:124], v[134:135]
	v_fma_f64 v[123:124], v[154:155], s[14:15], v[132:133]
	v_fma_f64 v[132:133], v[150:151], s[6:7], v[148:149]
	v_add_f64 v[134:135], v[152:153], v[156:157]
	v_fma_f64 v[148:149], v[150:151], s[14:15], v[95:96]
	v_add_f64 v[152:153], v[105:106], v[144:145]
	v_fma_f64 v[130:131], v[130:131], -0.5, v[218:219]
	v_add_f64 v[150:151], v[128:129], v[140:141]
	v_add_f64 v[138:139], v[103:104], -v[138:139]
	v_add_f64 v[95:96], v[99:100], v[142:143]
	v_fma_f64 v[99:100], v[97:98], s[16:17], v[101:102]
	v_fma_f64 v[128:129], v[134:135], s[16:17], v[132:133]
	;; [unrolled: 1-line block ×3, first 2 shown]
	v_fma_f64 v[101:102], v[152:153], -0.5, v[218:219]
	v_add_f64 v[148:149], v[12:13], v[146:147]
	v_fma_f64 v[154:155], v[158:159], s[10:11], v[130:131]
	v_fma_f64 v[103:104], v[97:98], s[16:17], v[123:124]
	v_add_f64 v[97:98], v[150:151], v[144:145]
	v_add_f64 v[134:135], v[105:106], -v[136:137]
	v_add_f64 v[142:143], v[144:145], -v[140:141]
	v_fma_f64 v[130:131], v[158:159], s[4:5], v[130:131]
	v_add_f64 v[150:151], v[60:61], v[62:63]
	v_fma_f64 v[152:153], v[138:139], s[4:5], v[101:102]
	v_add_f64 v[105:106], v[136:137], -v[105:106]
	v_add_f64 v[136:137], v[140:141], -v[144:145]
	v_fma_f64 v[101:102], v[138:139], s[10:11], v[101:102]
	v_add_f64 v[140:141], v[148:149], v[60:61]
	v_fma_f64 v[123:124], v[138:139], s[14:15], v[154:155]
	v_add_f64 v[134:135], v[134:135], v[142:143]
	v_fma_f64 v[130:131], v[138:139], s[6:7], v[130:131]
	v_fma_f64 v[138:139], v[150:151], -0.5, v[12:13]
	v_add_f64 v[142:143], v[50:51], -v[56:57]
	v_fma_f64 v[144:145], v[158:159], s[14:15], v[152:153]
	v_add_f64 v[136:137], v[105:106], v[136:137]
	v_fma_f64 v[148:149], v[158:159], s[6:7], v[101:102]
	v_add_f64 v[150:151], v[146:147], v[160:161]
	v_add_f64 v[140:141], v[140:141], v[62:63]
	v_fma_f64 v[101:102], v[134:135], s[16:17], v[123:124]
	v_fma_f64 v[105:106], v[134:135], s[16:17], v[130:131]
	;; [unrolled: 1-line block ×3, first 2 shown]
	v_add_f64 v[152:153], v[52:53], -v[54:55]
	v_fma_f64 v[130:131], v[136:137], s[16:17], v[144:145]
	v_fma_f64 v[134:135], v[136:137], s[16:17], v[148:149]
	v_fma_f64 v[136:137], v[150:151], -0.5, v[12:13]
	v_add_f64 v[12:13], v[140:141], v[160:161]
	v_add_f64 v[140:141], v[146:147], -v[60:61]
	v_add_f64 v[144:145], v[160:161], -v[62:63]
	v_fma_f64 v[138:139], v[142:143], s[10:11], v[138:139]
	v_fma_f64 v[123:124], v[152:153], s[6:7], v[123:124]
	v_add_f64 v[156:157], v[60:61], -v[146:147]
	v_add_f64 v[158:159], v[62:63], -v[160:161]
	v_fma_f64 v[154:155], v[152:153], s[10:11], v[136:137]
	v_mul_f64 v[48:49], v[200:201], v[186:187]
	v_add_f64 v[148:149], v[14:15], v[50:51]
	v_add_f64 v[140:141], v[140:141], v[144:145]
	v_fma_f64 v[144:145], v[152:153], s[4:5], v[136:137]
	v_add_f64 v[150:151], v[52:53], v[54:55]
	v_fma_f64 v[138:139], v[152:153], s[14:15], v[138:139]
	v_add_f64 v[146:147], v[146:147], -v[160:161]
	v_fma_f64 v[152:153], v[142:143], s[6:7], v[154:155]
	v_add_f64 v[154:155], v[156:157], v[158:159]
	v_fma_f64 v[36:37], v[202:203], v[184:185], v[48:49]
	v_fma_f64 v[136:137], v[140:141], s[16:17], v[123:124]
	;; [unrolled: 1-line block ×3, first 2 shown]
	v_add_f64 v[142:143], v[50:51], v[56:57]
	v_mul_f64 v[48:49], v[208:209], v[182:183]
	v_add_f64 v[148:149], v[148:149], v[52:53]
	v_fma_f64 v[150:151], v[150:151], -0.5, v[14:15]
	v_add_f64 v[62:63], v[60:61], -v[62:63]
	v_fma_f64 v[140:141], v[140:141], s[16:17], v[138:139]
	v_fma_f64 v[60:61], v[154:155], s[16:17], v[152:153]
	;; [unrolled: 1-line block ×3, first 2 shown]
	v_fma_f64 v[123:124], v[142:143], -0.5, v[14:15]
	v_fma_f64 v[48:49], v[210:211], v[180:181], v[48:49]
	v_add_f64 v[138:139], v[148:149], v[54:55]
	v_fma_f64 v[148:149], v[146:147], s[10:11], v[150:151]
	v_add_f64 v[152:153], v[44:45], v[46:47]
	v_add_f64 v[156:157], v[50:51], -v[52:53]
	v_add_f64 v[158:159], v[56:57], -v[54:55]
	;; [unrolled: 1-line block ×4, first 2 shown]
	v_fma_f64 v[54:55], v[62:63], s[10:11], v[123:124]
	v_add_f64 v[14:15], v[138:139], v[56:57]
	v_fma_f64 v[138:139], v[62:63], s[14:15], v[148:149]
	v_add_f64 v[142:143], v[8:9], v[42:43]
	v_fma_f64 v[148:149], v[152:153], -0.5, v[8:9]
	v_add_f64 v[152:153], v[38:39], -v[48:49]
	v_fma_f64 v[150:151], v[146:147], s[4:5], v[150:151]
	v_add_f64 v[154:155], v[156:157], v[158:159]
	v_fma_f64 v[156:157], v[62:63], s[4:5], v[123:124]
	v_add_f64 v[50:51], v[50:51], v[52:53]
	;; [unrolled: 2-line block ×3, first 2 shown]
	v_add_f64 v[158:159], v[40:41], -v[36:37]
	v_fma_f64 v[123:124], v[152:153], s[4:5], v[148:149]
	v_add_f64 v[142:143], v[42:43], -v[44:45]
	v_add_f64 v[160:161], v[58:59], -v[46:47]
	v_fma_f64 v[62:63], v[62:63], s[6:7], v[150:151]
	v_add_f64 v[150:151], v[42:43], v[58:59]
	v_fma_f64 v[156:157], v[146:147], s[14:15], v[156:157]
	v_fma_f64 v[146:147], v[50:51], s[16:17], v[52:53]
	v_add_f64 v[52:53], v[40:41], v[36:37]
	v_add_f64 v[54:55], v[56:57], v[46:47]
	v_fma_f64 v[56:57], v[158:159], s[6:7], v[123:124]
	v_add_f64 v[123:124], v[142:143], v[160:161]
	v_fma_f64 v[138:139], v[154:155], s[16:17], v[138:139]
	v_fma_f64 v[8:9], v[150:151], -0.5, v[8:9]
	v_fma_f64 v[142:143], v[154:155], s[16:17], v[62:63]
	v_add_f64 v[154:155], v[38:39], v[48:49]
	v_fma_f64 v[62:63], v[50:51], s[16:17], v[156:157]
	v_add_f64 v[150:151], v[44:45], -v[42:43]
	v_add_f64 v[156:157], v[46:47], -v[58:59]
	v_fma_f64 v[52:53], v[52:53], -0.5, v[10:11]
	v_add_f64 v[42:43], v[42:43], -v[58:59]
	v_add_f64 v[50:51], v[54:55], v[58:59]
	v_fma_f64 v[54:55], v[123:124], s[16:17], v[56:57]
	v_fma_f64 v[56:57], v[152:153], s[10:11], v[148:149]
	;; [unrolled: 1-line block ×3, first 2 shown]
	v_add_f64 v[160:161], v[10:11], v[38:39]
	v_add_f64 v[44:45], v[44:45], -v[46:47]
	v_fma_f64 v[10:11], v[154:155], -0.5, v[10:11]
	v_add_f64 v[46:47], v[150:151], v[156:157]
	v_fma_f64 v[150:151], v[42:43], s[10:11], v[52:53]
	v_add_f64 v[154:155], v[38:39], -v[40:41]
	v_add_f64 v[156:157], v[48:49], -v[36:37]
	v_fma_f64 v[52:53], v[42:43], s[4:5], v[52:53]
	v_fma_f64 v[58:59], v[152:153], s[6:7], v[148:149]
	v_add_f64 v[148:149], v[160:161], v[40:41]
	v_fma_f64 v[56:57], v[158:159], s[14:15], v[56:57]
	v_fma_f64 v[8:9], v[158:159], s[4:5], v[8:9]
	;; [unrolled: 1-line block ×3, first 2 shown]
	v_add_f64 v[38:39], v[40:41], -v[38:39]
	v_add_f64 v[40:41], v[36:37], -v[48:49]
	v_fma_f64 v[10:11], v[44:45], s[10:11], v[10:11]
	v_fma_f64 v[150:151], v[44:45], s[14:15], v[150:151]
	v_add_f64 v[154:155], v[154:155], v[156:157]
	v_fma_f64 v[44:45], v[44:45], s[6:7], v[52:53]
	v_add_f64 v[148:149], v[148:149], v[36:37]
	v_fma_f64 v[156:157], v[42:43], s[14:15], v[158:159]
	v_fma_f64 v[152:153], v[152:153], s[14:15], v[8:9]
	v_add_f64 v[158:159], v[38:39], v[40:41]
	v_fma_f64 v[42:43], v[42:43], s[6:7], v[10:11]
	v_fma_f64 v[8:9], v[123:124], s[16:17], v[56:57]
	v_fma_f64 v[56:57], v[154:155], s[16:17], v[150:151]
	v_fma_f64 v[10:11], v[154:155], s[16:17], v[44:45]
	v_mul_u32_u24_e32 v44, 0x960, v65
	v_lshlrev_b32_sdwa v45, v64, v66 dst_sel:DWORD dst_unused:UNUSED_PAD src0_sel:DWORD src1_sel:BYTE_0
	v_add3_u32 v44, 0, v44, v45
	v_add_f64 v[52:53], v[148:149], v[48:49]
	ds_write_b128 v44, v[16:19]
	ds_write_b128 v44, v[32:35] offset:480
	ds_write_b128 v44, v[28:31] offset:960
	;; [unrolled: 1-line block ×4, first 2 shown]
	v_mul_u32_u24_e32 v16, 0x960, v67
	v_lshlrev_b32_sdwa v17, v64, v68 dst_sel:DWORD dst_unused:UNUSED_PAD src0_sel:DWORD src1_sel:BYTE_0
	v_add3_u32 v16, 0, v16, v17
	v_fma_f64 v[36:37], v[46:47], s[16:17], v[58:59]
	v_fma_f64 v[38:39], v[158:159], s[16:17], v[156:157]
	ds_write_b128 v16, v[75:78]
	ds_write_b128 v16, v[79:82] offset:480
	ds_write_b128 v16, v[87:90] offset:960
	;; [unrolled: 1-line block ×4, first 2 shown]
	v_mul_u32_u24_e32 v16, 0x960, v69
	v_lshlrev_b32_e32 v17, 4, v70
	v_fma_f64 v[40:41], v[46:47], s[16:17], v[152:153]
	v_fma_f64 v[42:43], v[158:159], s[16:17], v[42:43]
	v_add3_u32 v16, 0, v16, v17
	ds_write_b128 v16, v[95:98]
	ds_write_b128 v16, v[99:102] offset:480
	ds_write_b128 v16, v[128:131] offset:960
	;; [unrolled: 1-line block ×4, first 2 shown]
	v_mul_u32_u24_e32 v16, 0x960, v71
	v_lshlrev_b32_e32 v17, 4, v72
	v_add3_u32 v16, 0, v16, v17
	ds_write_b128 v16, v[12:15]
	ds_write_b128 v16, v[136:139] offset:480
	ds_write_b128 v16, v[60:63] offset:960
	;; [unrolled: 1-line block ×4, first 2 shown]
	v_mul_u32_u24_e32 v12, 0x960, v73
	v_lshlrev_b32_e32 v13, 4, v74
	v_add3_u32 v12, 0, v12, v13
	ds_write_b128 v12, v[50:53]
	ds_write_b128 v12, v[54:57] offset:480
	ds_write_b128 v12, v[36:39] offset:960
	;; [unrolled: 1-line block ×4, first 2 shown]
	s_waitcnt lgkmcnt(0)
	s_barrier
	ds_read_b128 v[36:39], v127
	ds_read_b128 v[32:35], v126
	ds_read_b128 v[88:91], v125 offset:13440
	ds_read_b128 v[96:99], v125 offset:14880
	;; [unrolled: 1-line block ×20, first 2 shown]
	ds_read_b128 v[40:43], v125
	ds_read_b128 v[48:51], v125 offset:34080
	s_and_saveexec_b64 s[4:5], s[2:3]
	s_cbranch_execz .LBB0_21
; %bb.20:
	ds_read_b128 v[0:3], v125 offset:23520
	ds_read_b128 v[8:11], v125 offset:11520
	;; [unrolled: 1-line block ×3, first 2 shown]
.LBB0_21:
	s_or_b64 exec, exec, s[4:5]
	v_lshlrev_b32_e32 v123, 1, v108
	v_mov_b32_e32 v124, 0
	v_lshlrev_b64 v[128:129], 4, v[123:124]
	v_mov_b32_e32 v113, s9
	v_add_co_u32_e64 v128, s[4:5], s8, v128
	v_addc_co_u32_e64 v129, s[4:5], v113, v129, s[4:5]
	v_subrev_u32_e32 v109, 60, v108
	v_cmp_gt_u32_e64 s[4:5], 60, v108
	v_cndmask_b32_e64 v109, v109, v112, s[4:5]
	global_load_dwordx4 v[131:134], v[128:129], off offset:2256
	global_load_dwordx4 v[135:138], v[128:129], off offset:2240
	v_lshlrev_b32_e32 v128, 1, v109
	v_mov_b32_e32 v129, v124
	v_lshlrev_b64 v[128:129], 4, v[128:129]
	v_add_u32_e32 v123, 60, v123
	v_add_co_u32_e64 v128, s[4:5], s8, v128
	v_lshlrev_b64 v[139:140], 4, v[123:124]
	v_addc_co_u32_e64 v129, s[4:5], v113, v129, s[4:5]
	v_add_co_u32_e64 v143, s[4:5], s8, v139
	v_addc_co_u32_e64 v144, s[4:5], v113, v140, s[4:5]
	v_lshrrev_b16_e32 v113, 1, v118
	v_mul_u32_u24_e32 v113, 0xda75, v113
	v_lshrrev_b32_e32 v113, 22, v113
	v_mul_lo_u16_e32 v115, 0x96, v113
	v_sub_u16_e32 v115, v118, v115
	v_lshlrev_b32_e32 v119, 5, v115
	global_load_dwordx4 v[139:142], v[143:144], off offset:2256
	s_nop 0
	global_load_dwordx4 v[143:146], v[143:144], off offset:2240
	s_nop 0
	global_load_dwordx4 v[147:150], v[128:129], off offset:2256
	global_load_dwordx4 v[151:154], v[128:129], off offset:2240
	global_load_dwordx4 v[155:158], v119, s[8:9] offset:2240
	global_load_dwordx4 v[159:162], v119, s[8:9] offset:2256
	v_lshrrev_b16_e32 v119, 1, v122
	v_mul_u32_u24_e32 v119, 0xda75, v119
	v_lshrrev_b32_e32 v119, 22, v119
	v_mul_lo_u16_e32 v119, 0x96, v119
	v_sub_u16_e32 v119, v122, v119
	v_lshlrev_b32_e32 v123, 5, v119
	global_load_dwordx4 v[163:166], v123, s[8:9] offset:2240
	global_load_dwordx4 v[167:170], v123, s[8:9] offset:2256
	v_lshrrev_b16_e32 v123, 1, v121
	v_mul_u32_u24_e32 v123, 0xda75, v123
	v_lshrrev_b32_e32 v123, 22, v123
	v_mul_lo_u16_e32 v123, 0x96, v123
	v_sub_u16_e32 v123, v121, v123
	v_lshlrev_b32_e32 v128, 5, v123
	;; [unrolled: 8-line block ×4, first 2 shown]
	global_load_dwordx4 v[187:190], v191, s[8:9] offset:2240
	s_nop 0
	global_load_dwordx4 v[191:194], v191, s[8:9] offset:2256
	s_mov_b32 s6, 0xe8584caa
	s_mov_b32 s7, 0x3febb67a
	;; [unrolled: 1-line block ×4, first 2 shown]
	s_waitcnt vmcnt(0) lgkmcnt(0)
	s_barrier
	v_cmp_lt_u32_e64 s[4:5], 59, v108
	v_mul_f64 v[197:198], v[106:107], v[133:134]
	v_mul_f64 v[195:196], v[102:103], v[137:138]
	v_mul_f64 v[137:138], v[100:101], v[137:138]
	v_mul_f64 v[133:134], v[104:105], v[133:134]
	v_fma_f64 v[104:105], v[104:105], v[131:132], -v[197:198]
	v_fma_f64 v[100:101], v[100:101], v[135:136], -v[195:196]
	v_fma_f64 v[102:103], v[102:103], v[135:136], v[137:138]
	v_fma_f64 v[106:107], v[106:107], v[131:132], v[133:134]
	v_mul_f64 v[201:202], v[78:79], v[141:142]
	v_mul_f64 v[141:142], v[76:77], v[141:142]
	;; [unrolled: 1-line block ×8, first 2 shown]
	v_fma_f64 v[76:77], v[76:77], v[139:140], -v[201:202]
	v_fma_f64 v[78:79], v[78:79], v[139:140], v[141:142]
	v_mul_f64 v[135:136], v[74:75], v[165:166]
	v_mul_f64 v[137:138], v[72:73], v[165:166]
	;; [unrolled: 1-line block ×3, first 2 shown]
	v_fma_f64 v[80:81], v[80:81], v[159:160], -v[131:132]
	v_fma_f64 v[82:83], v[82:83], v[159:160], v[133:134]
	v_mul_f64 v[149:150], v[92:93], v[149:150]
	v_fma_f64 v[96:97], v[96:97], v[143:144], -v[199:200]
	v_fma_f64 v[98:99], v[98:99], v[143:144], v[145:146]
	v_fma_f64 v[131:132], v[72:73], v[163:164], -v[135:136]
	v_mul_f64 v[72:73], v[60:61], v[169:170]
	v_mul_f64 v[133:134], v[70:71], v[177:178]
	v_fma_f64 v[74:75], v[74:75], v[163:164], v[137:138]
	v_mul_f64 v[135:136], v[68:69], v[177:178]
	v_fma_f64 v[137:138], v[60:61], v[167:168], -v[139:140]
	v_mul_f64 v[60:61], v[66:67], v[173:174]
	v_mul_f64 v[141:142], v[58:59], v[181:182]
	;; [unrolled: 1-line block ×3, first 2 shown]
	v_fma_f64 v[143:144], v[62:63], v[167:168], v[72:73]
	v_mul_f64 v[62:63], v[56:57], v[181:182]
	v_fma_f64 v[133:134], v[68:69], v[175:176], -v[133:134]
	v_mul_f64 v[68:69], v[54:55], v[185:186]
	v_mul_f64 v[207:208], v[86:87], v[157:158]
	;; [unrolled: 1-line block ×3, first 2 shown]
	v_fma_f64 v[88:89], v[88:89], v[151:152], -v[203:204]
	v_fma_f64 v[92:93], v[92:93], v[147:148], -v[205:206]
	v_fma_f64 v[94:95], v[94:95], v[147:148], v[149:150]
	v_fma_f64 v[145:146], v[64:65], v[171:172], -v[60:61]
	v_fma_f64 v[141:142], v[56:57], v[179:180], -v[141:142]
	v_mul_f64 v[56:57], v[52:53], v[185:186]
	v_fma_f64 v[147:148], v[58:59], v[179:180], v[62:63]
	v_mul_f64 v[58:59], v[46:47], v[189:190]
	v_add_f64 v[60:61], v[100:101], v[104:105]
	v_fma_f64 v[149:150], v[52:53], v[183:184], -v[68:69]
	v_mul_f64 v[52:53], v[44:45], v[189:190]
	v_fma_f64 v[90:91], v[90:91], v[151:152], v[153:154]
	v_fma_f64 v[84:85], v[84:85], v[155:156], -v[207:208]
	v_fma_f64 v[86:87], v[86:87], v[155:156], v[157:158]
	v_mul_f64 v[139:140], v[64:65], v[173:174]
	v_mul_f64 v[62:63], v[50:51], v[193:194]
	;; [unrolled: 1-line block ×3, first 2 shown]
	v_fma_f64 v[151:152], v[54:55], v[183:184], v[56:57]
	v_add_f64 v[54:55], v[40:41], v[100:101]
	v_fma_f64 v[153:154], v[44:45], v[187:188], -v[58:59]
	v_fma_f64 v[56:57], v[60:61], -0.5, v[40:41]
	v_add_f64 v[58:59], v[102:103], -v[106:107]
	v_fma_f64 v[155:156], v[46:47], v[187:188], v[52:53]
	v_add_f64 v[46:47], v[102:103], v[106:107]
	v_add_f64 v[52:53], v[88:89], v[92:93]
	v_fma_f64 v[157:158], v[48:49], v[191:192], -v[62:63]
	v_fma_f64 v[159:160], v[50:51], v[191:192], v[64:65]
	v_add_f64 v[40:41], v[54:55], v[104:105]
	v_add_f64 v[50:51], v[42:43], v[102:103]
	v_fma_f64 v[44:45], v[58:59], s[6:7], v[56:57]
	v_add_f64 v[60:61], v[100:101], -v[104:105]
	v_fma_f64 v[54:55], v[46:47], -0.5, v[42:43]
	v_fma_f64 v[48:49], v[58:59], s[10:11], v[56:57]
	v_add_f64 v[56:57], v[36:37], v[88:89]
	v_add_f64 v[58:59], v[90:91], v[94:95]
	v_fma_f64 v[62:63], v[52:53], -0.5, v[36:37]
	v_add_f64 v[64:65], v[90:91], -v[94:95]
	v_fma_f64 v[139:140], v[66:67], v[171:172], v[139:140]
	v_add_f64 v[42:43], v[50:51], v[106:107]
	v_fma_f64 v[46:47], v[60:61], s[10:11], v[54:55]
	v_fma_f64 v[50:51], v[60:61], s[6:7], v[54:55]
	v_add_f64 v[54:55], v[38:39], v[90:91]
	v_add_f64 v[36:37], v[56:57], v[92:93]
	;; [unrolled: 1-line block ×3, first 2 shown]
	v_fma_f64 v[58:59], v[58:59], -0.5, v[38:39]
	v_add_f64 v[66:67], v[88:89], -v[92:93]
	v_fma_f64 v[52:53], v[64:65], s[6:7], v[62:63]
	v_fma_f64 v[56:57], v[64:65], s[10:11], v[62:63]
	v_add_f64 v[62:63], v[32:33], v[96:97]
	v_add_f64 v[64:65], v[98:99], v[78:79]
	v_fma_f64 v[135:136], v[70:71], v[175:176], v[135:136]
	v_add_f64 v[38:39], v[54:55], v[94:95]
	v_fma_f64 v[68:69], v[60:61], -0.5, v[32:33]
	v_add_f64 v[70:71], v[98:99], -v[78:79]
	v_fma_f64 v[54:55], v[66:67], s[10:11], v[58:59]
	v_fma_f64 v[58:59], v[66:67], s[6:7], v[58:59]
	v_add_f64 v[66:67], v[34:35], v[98:99]
	v_add_f64 v[32:33], v[62:63], v[76:77]
	v_add_f64 v[62:63], v[84:85], v[80:81]
	v_fma_f64 v[72:73], v[64:65], -0.5, v[34:35]
	v_add_f64 v[76:77], v[96:97], -v[76:77]
	v_fma_f64 v[60:61], v[70:71], s[6:7], v[68:69]
	v_fma_f64 v[64:65], v[70:71], s[10:11], v[68:69]
	v_add_f64 v[68:69], v[28:29], v[84:85]
	v_add_f64 v[34:35], v[66:67], v[78:79]
	v_add_f64 v[88:89], v[86:87], -v[82:83]
	v_fma_f64 v[78:79], v[62:63], -0.5, v[28:29]
	v_add_f64 v[70:71], v[86:87], v[82:83]
	v_fma_f64 v[62:63], v[76:77], s[10:11], v[72:73]
	v_fma_f64 v[66:67], v[76:77], s[6:7], v[72:73]
	v_add_f64 v[76:77], v[30:31], v[86:87]
	v_add_f64 v[86:87], v[131:132], v[137:138]
	;; [unrolled: 1-line block ×3, first 2 shown]
	v_add_f64 v[80:81], v[84:85], -v[80:81]
	v_fma_f64 v[68:69], v[88:89], s[6:7], v[78:79]
	v_fma_f64 v[72:73], v[88:89], s[10:11], v[78:79]
	v_add_f64 v[78:79], v[24:25], v[131:132]
	v_fma_f64 v[90:91], v[70:71], -0.5, v[30:31]
	v_add_f64 v[30:31], v[76:77], v[82:83]
	v_add_f64 v[76:77], v[74:75], v[143:144]
	v_fma_f64 v[82:83], v[86:87], -0.5, v[24:25]
	v_add_f64 v[84:85], v[74:75], -v[143:144]
	v_add_f64 v[86:87], v[26:27], v[74:75]
	v_add_f64 v[94:95], v[135:136], -v[139:140]
	v_add_f64 v[24:25], v[78:79], v[137:138]
	v_add_f64 v[78:79], v[133:134], v[145:146]
	v_fma_f64 v[70:71], v[80:81], s[10:11], v[90:91]
	v_fma_f64 v[74:75], v[80:81], s[6:7], v[90:91]
	v_fma_f64 v[88:89], v[76:77], -0.5, v[26:27]
	v_add_f64 v[90:91], v[131:132], -v[137:138]
	v_fma_f64 v[76:77], v[84:85], s[6:7], v[82:83]
	v_fma_f64 v[80:81], v[84:85], s[10:11], v[82:83]
	v_add_f64 v[84:85], v[135:136], v[139:140]
	v_fma_f64 v[92:93], v[78:79], -0.5, v[20:21]
	v_add_f64 v[96:97], v[141:142], v[149:150]
	v_add_f64 v[26:27], v[86:87], v[143:144]
	;; [unrolled: 1-line block ×3, first 2 shown]
	v_fma_f64 v[78:79], v[90:91], s[10:11], v[88:89]
	v_fma_f64 v[82:83], v[90:91], s[6:7], v[88:89]
	v_add_f64 v[90:91], v[22:23], v[135:136]
	v_fma_f64 v[98:99], v[84:85], -0.5, v[22:23]
	v_add_f64 v[100:101], v[133:134], -v[145:146]
	v_add_f64 v[102:103], v[12:13], v[141:142]
	v_fma_f64 v[84:85], v[94:95], s[6:7], v[92:93]
	v_fma_f64 v[96:97], v[96:97], -0.5, v[12:13]
	v_add_f64 v[104:105], v[147:148], -v[151:152]
	v_fma_f64 v[88:89], v[94:95], s[10:11], v[92:93]
	v_add_f64 v[94:95], v[147:148], v[151:152]
	v_add_f64 v[20:21], v[86:87], v[145:146]
	v_add_f64 v[22:23], v[90:91], v[139:140]
	v_fma_f64 v[86:87], v[100:101], s[10:11], v[98:99]
	v_fma_f64 v[90:91], v[100:101], s[6:7], v[98:99]
	v_add_f64 v[98:99], v[153:154], v[157:158]
	v_add_f64 v[100:101], v[155:156], v[159:160]
	;; [unrolled: 1-line block ×4, first 2 shown]
	v_fma_f64 v[92:93], v[104:105], s[6:7], v[96:97]
	v_fma_f64 v[96:97], v[104:105], s[10:11], v[96:97]
	v_fma_f64 v[104:105], v[94:95], -0.5, v[14:15]
	v_add_f64 v[106:107], v[141:142], -v[149:150]
	v_add_f64 v[131:132], v[16:17], v[153:154]
	v_add_f64 v[137:138], v[18:19], v[155:156]
	v_fma_f64 v[133:134], v[98:99], -0.5, v[16:17]
	v_add_f64 v[135:136], v[155:156], -v[159:160]
	v_fma_f64 v[139:140], v[100:101], -0.5, v[18:19]
	v_add_f64 v[141:142], v[153:154], -v[157:158]
	ds_write_b128 v125, v[40:43]
	ds_write_b128 v125, v[44:47] offset:2400
	ds_write_b128 v125, v[48:51] offset:4800
	v_mov_b32_e32 v40, 0x1c20
	v_add_f64 v[14:15], v[102:103], v[151:152]
	v_cndmask_b32_e64 v40, 0, v40, s[4:5]
	v_lshlrev_b32_e32 v41, 4, v109
	v_fma_f64 v[94:95], v[106:107], s[10:11], v[104:105]
	v_add_f64 v[16:17], v[131:132], v[157:158]
	v_add_f64 v[18:19], v[137:138], v[159:160]
	v_add3_u32 v40, 0, v40, v41
	v_fma_f64 v[98:99], v[106:107], s[6:7], v[104:105]
	v_fma_f64 v[100:101], v[135:136], s[6:7], v[133:134]
	;; [unrolled: 1-line block ×3, first 2 shown]
	ds_write_b128 v40, v[36:39]
	ds_write_b128 v40, v[52:55] offset:2400
	ds_write_b128 v40, v[56:59] offset:4800
	;; [unrolled: 1-line block ×5, first 2 shown]
	v_mul_u32_u24_e32 v32, 0x1c20, v113
	v_lshlrev_b32_e32 v33, 4, v115
	v_fma_f64 v[104:105], v[135:136], s[10:11], v[133:134]
	v_fma_f64 v[106:107], v[141:142], s[6:7], v[139:140]
	v_add3_u32 v32, 0, v32, v33
	ds_write_b128 v32, v[28:31]
	ds_write_b128 v32, v[68:71] offset:2400
	ds_write_b128 v32, v[72:75] offset:4800
	v_lshl_add_u32 v28, v119, 4, 0
	ds_write_b128 v28, v[24:27] offset:14400
	ds_write_b128 v28, v[76:79] offset:16800
	;; [unrolled: 1-line block ×3, first 2 shown]
	v_lshl_add_u32 v24, v123, 4, 0
	ds_write_b128 v24, v[20:23] offset:21600
	ds_write_b128 v24, v[84:87] offset:24000
	;; [unrolled: 1-line block ×3, first 2 shown]
	v_mul_u32_u24_e32 v20, 0x1c20, v128
	v_lshlrev_b32_e32 v21, 4, v129
	v_add3_u32 v20, 0, v20, v21
	ds_write_b128 v20, v[12:15]
	ds_write_b128 v20, v[92:95] offset:2400
	ds_write_b128 v20, v[96:99] offset:4800
	v_lshl_add_u32 v12, v130, 4, 0
	ds_write_b128 v12, v[16:19] offset:28800
	ds_write_b128 v12, v[100:103] offset:31200
	;; [unrolled: 1-line block ×3, first 2 shown]
	s_and_saveexec_b64 s[4:5], s[2:3]
	s_cbranch_execz .LBB0_23
; %bb.22:
	v_lshrrev_b16_e32 v12, 1, v116
	v_mul_u32_u24_e32 v12, 0xda75, v12
	v_lshrrev_b32_e32 v12, 22, v12
	v_mul_lo_u16_e32 v12, 0x96, v12
	v_sub_u16_e32 v24, v116, v12
	v_lshlrev_b32_e32 v20, 5, v24
	global_load_dwordx4 v[12:15], v20, s[8:9] offset:2240
	global_load_dwordx4 v[16:19], v20, s[8:9] offset:2256
	s_waitcnt vmcnt(1)
	v_mul_f64 v[20:21], v[0:1], v[14:15]
	s_waitcnt vmcnt(0)
	v_mul_f64 v[22:23], v[4:5], v[18:19]
	v_mul_f64 v[14:15], v[2:3], v[14:15]
	;; [unrolled: 1-line block ×3, first 2 shown]
	v_fma_f64 v[2:3], v[2:3], v[12:13], v[20:21]
	v_fma_f64 v[6:7], v[6:7], v[16:17], v[22:23]
	v_fma_f64 v[0:1], v[0:1], v[12:13], -v[14:15]
	v_fma_f64 v[4:5], v[4:5], v[16:17], -v[18:19]
	v_add_f64 v[18:19], v[10:11], v[2:3]
	v_add_f64 v[12:13], v[2:3], v[6:7]
	;; [unrolled: 1-line block ×3, first 2 shown]
	v_add_f64 v[16:17], v[0:1], -v[4:5]
	v_add_f64 v[0:1], v[8:9], v[0:1]
	v_fma_f64 v[10:11], v[12:13], -0.5, v[10:11]
	v_add_f64 v[12:13], v[2:3], -v[6:7]
	v_fma_f64 v[14:15], v[14:15], -0.5, v[8:9]
	v_add_f64 v[2:3], v[18:19], v[6:7]
	v_add_f64 v[0:1], v[0:1], v[4:5]
	v_fma_f64 v[6:7], v[16:17], s[6:7], v[10:11]
	v_fma_f64 v[10:11], v[16:17], s[10:11], v[10:11]
	;; [unrolled: 1-line block ×4, first 2 shown]
	v_lshl_add_u32 v12, v24, 4, 0
	ds_write_b128 v12, v[0:3] offset:28800
	ds_write_b128 v12, v[8:11] offset:31200
	;; [unrolled: 1-line block ×3, first 2 shown]
.LBB0_23:
	s_or_b64 exec, exec, s[4:5]
	v_lshlrev_b32_e32 v123, 2, v108
	v_lshlrev_b64 v[12:13], 4, v[123:124]
	v_mov_b32_e32 v109, s9
	v_add_co_u32_e64 v14, s[2:3], s8, v12
	v_addc_co_u32_e64 v15, s[2:3], v109, v13, s[2:3]
	s_movk_i32 s4, 0x1b80
	v_add_co_u32_e64 v12, s[2:3], s4, v14
	v_addc_co_u32_e64 v13, s[2:3], 0, v15, s[2:3]
	s_movk_i32 s5, 0x1000
	v_add_co_u32_e64 v14, s[2:3], s5, v14
	v_addc_co_u32_e64 v15, s[2:3], 0, v15, s[2:3]
	s_waitcnt lgkmcnt(0)
	s_barrier
	ds_read_b128 v[20:23], v125 offset:14400
	ds_read_b128 v[24:27], v125 offset:15840
	;; [unrolled: 1-line block ×4, first 2 shown]
	ds_read_b128 v[8:11], v127
	ds_read_b128 v[4:7], v126
	ds_read_b128 v[36:39], v125 offset:8640
	ds_read_b128 v[40:43], v125 offset:10080
	ds_read_b128 v[44:47], v125 offset:23040
	ds_read_b128 v[48:51], v125 offset:24480
	ds_read_b128 v[52:55], v125 offset:31680
	ds_read_b128 v[16:19], v125
	ds_read_b128 v[0:3], v125 offset:4320
	global_load_dwordx4 v[56:59], v[14:15], off offset:2944
	global_load_dwordx4 v[60:63], v[12:13], off offset:48
	;; [unrolled: 1-line block ×4, first 2 shown]
	v_lshlrev_b32_e32 v123, 2, v112
	v_lshlrev_b64 v[12:13], 4, v[123:124]
	v_lshlrev_b32_e32 v123, 2, v114
	v_add_co_u32_e64 v14, s[2:3], s8, v12
	v_addc_co_u32_e64 v15, s[2:3], v109, v13, s[2:3]
	v_add_co_u32_e64 v12, s[2:3], s4, v14
	v_addc_co_u32_e64 v13, s[2:3], 0, v15, s[2:3]
	;; [unrolled: 2-line block ×3, first 2 shown]
	global_load_dwordx4 v[72:75], v[14:15], off offset:2944
	global_load_dwordx4 v[76:79], v[12:13], off offset:48
	;; [unrolled: 1-line block ×4, first 2 shown]
	v_lshlrev_b64 v[12:13], 4, v[123:124]
	v_lshlrev_b32_e32 v123, 2, v118
	v_add_co_u32_e64 v14, s[2:3], s8, v12
	v_addc_co_u32_e64 v15, s[2:3], v109, v13, s[2:3]
	v_add_co_u32_e64 v12, s[2:3], s4, v14
	v_addc_co_u32_e64 v13, s[2:3], 0, v15, s[2:3]
	;; [unrolled: 2-line block ×3, first 2 shown]
	global_load_dwordx4 v[88:91], v[14:15], off offset:2944
	global_load_dwordx4 v[92:95], v[12:13], off offset:48
	;; [unrolled: 1-line block ×4, first 2 shown]
	v_lshlrev_b64 v[12:13], 4, v[123:124]
	v_lshlrev_b32_e32 v123, 2, v122
	v_add_co_u32_e64 v14, s[2:3], s8, v12
	v_addc_co_u32_e64 v15, s[2:3], v109, v13, s[2:3]
	v_add_co_u32_e64 v12, s[2:3], s4, v14
	v_addc_co_u32_e64 v13, s[2:3], 0, v15, s[2:3]
	;; [unrolled: 2-line block ×3, first 2 shown]
	global_load_dwordx4 v[104:107], v[14:15], off offset:2944
	global_load_dwordx4 v[128:131], v[12:13], off offset:48
                                        ; kill: killed $vgpr14 killed $vgpr15
	global_load_dwordx4 v[132:135], v[12:13], off offset:32
	global_load_dwordx4 v[136:139], v[12:13], off offset:16
	v_lshlrev_b64 v[12:13], 4, v[123:124]
	s_mov_b32 s7, 0xbfee6f0e
	v_add_co_u32_e64 v14, s[2:3], s8, v12
	v_addc_co_u32_e64 v15, s[2:3], v109, v13, s[2:3]
	v_add_co_u32_e64 v12, s[2:3], s5, v14
	v_addc_co_u32_e64 v13, s[2:3], 0, v15, s[2:3]
	;; [unrolled: 2-line block ×3, first 2 shown]
	global_load_dwordx4 v[140:143], v[12:13], off offset:2944
	global_load_dwordx4 v[144:147], v[123:124], off offset:32
	;; [unrolled: 1-line block ×3, first 2 shown]
	ds_read_b128 v[152:155], v125 offset:17280
	ds_read_b128 v[156:159], v125 offset:18720
	ds_read_b128 v[160:163], v125 offset:7200
	ds_read_b128 v[12:15], v125 offset:5760
	ds_read_b128 v[164:167], v125 offset:11520
	ds_read_b128 v[168:171], v125 offset:12960
	ds_read_b128 v[172:175], v125 offset:21600
	ds_read_b128 v[176:179], v125 offset:20160
	ds_read_b128 v[180:183], v125 offset:25920
	ds_read_b128 v[184:187], v125 offset:27360
	ds_read_b128 v[188:191], v125 offset:33120
	ds_read_b128 v[192:195], v125 offset:34560
	global_load_dwordx4 v[196:199], v[123:124], off offset:48
	s_mov_b32 s2, 0x134454ff
	s_mov_b32 s3, 0x3fee6f0e
	;; [unrolled: 1-line block ×9, first 2 shown]
	s_waitcnt vmcnt(0) lgkmcnt(0)
	s_barrier
	v_mul_f64 v[200:201], v[162:163], v[58:59]
	v_mul_f64 v[58:59], v[160:161], v[58:59]
	;; [unrolled: 1-line block ×6, first 2 shown]
	v_fma_f64 v[160:161], v[160:161], v[56:57], -v[200:201]
	v_mul_f64 v[200:201], v[30:31], v[62:63]
	v_mul_f64 v[62:63], v[28:29], v[62:63]
	v_fma_f64 v[123:124], v[20:21], v[68:69], -v[123:124]
	v_fma_f64 v[162:163], v[162:163], v[56:57], v[58:59]
	v_fma_f64 v[22:23], v[22:23], v[68:69], v[70:71]
	v_fma_f64 v[68:69], v[172:173], v[64:65], -v[202:203]
	v_fma_f64 v[64:65], v[174:175], v[64:65], v[66:67]
	v_mul_f64 v[20:21], v[38:39], v[74:75]
	v_mul_f64 v[56:57], v[36:37], v[74:75]
	v_fma_f64 v[30:31], v[30:31], v[60:61], v[62:63]
	v_mul_f64 v[58:59], v[26:27], v[86:87]
	v_mul_f64 v[62:63], v[46:47], v[82:83]
	v_mul_f64 v[66:67], v[44:45], v[82:83]
	v_fma_f64 v[28:29], v[28:29], v[60:61], -v[200:201]
	v_mul_f64 v[60:61], v[24:25], v[86:87]
	v_fma_f64 v[70:71], v[36:37], v[72:73], -v[20:21]
	v_mul_f64 v[20:21], v[34:35], v[78:79]
	v_mul_f64 v[36:37], v[32:33], v[78:79]
	v_fma_f64 v[74:75], v[38:39], v[72:73], v[56:57]
	v_fma_f64 v[72:73], v[24:25], v[84:85], -v[58:59]
	v_fma_f64 v[82:83], v[44:45], v[80:81], -v[62:63]
	v_fma_f64 v[66:67], v[46:47], v[80:81], v[66:67]
	v_mul_f64 v[24:25], v[42:43], v[90:91]
	v_fma_f64 v[78:79], v[26:27], v[84:85], v[60:61]
	v_fma_f64 v[80:81], v[32:33], v[76:77], -v[20:21]
	v_mul_f64 v[20:21], v[40:41], v[90:91]
	v_fma_f64 v[84:85], v[34:35], v[76:77], v[36:37]
	v_mul_f64 v[26:27], v[154:155], v[102:103]
	v_mul_f64 v[32:33], v[152:153], v[102:103]
	;; [unrolled: 1-line block ×4, first 2 shown]
	v_fma_f64 v[86:87], v[40:41], v[88:89], -v[24:25]
	v_mul_f64 v[24:25], v[54:55], v[94:95]
	v_fma_f64 v[90:91], v[42:43], v[88:89], v[20:21]
	v_mul_f64 v[38:39], v[52:53], v[94:95]
	v_fma_f64 v[88:89], v[152:153], v[100:101], -v[26:27]
	v_mul_f64 v[20:21], v[166:167], v[106:107]
	v_fma_f64 v[94:95], v[154:155], v[100:101], v[32:33]
	v_fma_f64 v[98:99], v[48:49], v[96:97], -v[34:35]
	v_fma_f64 v[96:97], v[50:51], v[96:97], v[36:37]
	v_fma_f64 v[100:101], v[52:53], v[92:93], -v[24:25]
	v_mul_f64 v[24:25], v[164:165], v[106:107]
	v_mul_f64 v[26:27], v[158:159], v[138:139]
	;; [unrolled: 1-line block ×5, first 2 shown]
	v_fma_f64 v[106:107], v[164:165], v[104:105], -v[20:21]
	v_mul_f64 v[20:21], v[190:191], v[130:131]
	v_fma_f64 v[102:103], v[54:55], v[92:93], v[38:39]
	v_mul_f64 v[38:39], v[188:189], v[130:131]
	v_fma_f64 v[50:51], v[166:167], v[104:105], v[24:25]
	v_fma_f64 v[60:61], v[156:157], v[136:137], -v[26:27]
	v_fma_f64 v[52:53], v[158:159], v[136:137], v[32:33]
	v_fma_f64 v[62:63], v[180:181], v[132:133], -v[34:35]
	v_fma_f64 v[54:55], v[182:183], v[132:133], v[36:37]
	v_mul_f64 v[24:25], v[170:171], v[142:143]
	v_fma_f64 v[104:105], v[188:189], v[128:129], -v[20:21]
	v_mul_f64 v[20:21], v[168:169], v[142:143]
	v_mul_f64 v[26:27], v[178:179], v[150:151]
	v_add_f64 v[32:33], v[16:17], v[160:161]
	v_mul_f64 v[34:35], v[176:177], v[150:151]
	v_add_f64 v[36:37], v[123:124], v[68:69]
	v_fma_f64 v[56:57], v[190:191], v[128:129], v[38:39]
	v_fma_f64 v[42:43], v[168:169], v[140:141], -v[24:25]
	v_mul_f64 v[24:25], v[186:187], v[146:147]
	v_mul_f64 v[48:49], v[184:185], v[146:147]
	v_fma_f64 v[38:39], v[170:171], v[140:141], v[20:21]
	v_fma_f64 v[44:45], v[176:177], v[148:149], -v[26:27]
	v_add_f64 v[20:21], v[32:33], v[123:124]
	v_fma_f64 v[40:41], v[178:179], v[148:149], v[34:35]
	v_fma_f64 v[26:27], v[36:37], -0.5, v[16:17]
	v_add_f64 v[32:33], v[162:163], -v[30:31]
	v_mul_f64 v[34:35], v[192:193], v[198:199]
	v_add_f64 v[128:129], v[160:161], v[28:29]
	v_add_f64 v[130:131], v[160:161], -v[123:124]
	v_add_f64 v[132:133], v[28:29], -v[68:69]
	v_fma_f64 v[46:47], v[184:185], v[144:145], -v[24:25]
	v_fma_f64 v[36:37], v[186:187], v[144:145], v[48:49]
	v_mul_f64 v[24:25], v[194:195], v[198:199]
	v_fma_f64 v[76:77], v[32:33], s[2:3], v[26:27]
	v_add_f64 v[92:93], v[22:23], -v[64:65]
	v_fma_f64 v[48:49], v[194:195], v[196:197], v[34:35]
	v_fma_f64 v[16:17], v[128:129], -0.5, v[16:17]
	v_add_f64 v[34:35], v[130:131], v[132:133]
	v_fma_f64 v[26:27], v[32:33], s[6:7], v[26:27]
	v_add_f64 v[130:131], v[123:124], -v[160:161]
	v_add_f64 v[132:133], v[68:69], -v[28:29]
	v_fma_f64 v[58:59], v[192:193], v[196:197], -v[24:25]
	v_fma_f64 v[24:25], v[92:93], s[4:5], v[76:77]
	v_add_f64 v[76:77], v[22:23], v[64:65]
	v_fma_f64 v[128:129], v[92:93], s[6:7], v[16:17]
	v_fma_f64 v[16:17], v[92:93], s[2:3], v[16:17]
	v_add_f64 v[134:135], v[18:19], v[162:163]
	v_fma_f64 v[26:27], v[92:93], s[10:11], v[26:27]
	v_add_f64 v[92:93], v[130:131], v[132:133]
	v_add_f64 v[132:133], v[162:163], v[30:31]
	;; [unrolled: 1-line block ×3, first 2 shown]
	v_fma_f64 v[76:77], v[76:77], -0.5, v[18:19]
	v_add_f64 v[136:137], v[160:161], -v[28:29]
	v_add_f64 v[68:69], v[123:124], -v[68:69]
	v_add_f64 v[130:131], v[134:135], v[22:23]
	v_add_f64 v[123:124], v[72:73], v[82:83]
	v_add_f64 v[138:139], v[78:79], -v[66:67]
	v_fma_f64 v[18:19], v[132:133], -0.5, v[18:19]
	v_add_f64 v[20:21], v[20:21], v[28:29]
	v_fma_f64 v[28:29], v[32:33], s[4:5], v[128:129]
	v_fma_f64 v[128:129], v[32:33], s[10:11], v[16:17]
	;; [unrolled: 1-line block ×4, first 2 shown]
	v_add_f64 v[26:27], v[130:131], v[64:65]
	v_fma_f64 v[76:77], v[136:137], s[2:3], v[76:77]
	v_fma_f64 v[130:131], v[68:69], s[2:3], v[18:19]
	v_fma_f64 v[32:33], v[34:35], s[14:15], v[24:25]
	v_fma_f64 v[28:29], v[92:93], s[14:15], v[28:29]
	v_fma_f64 v[24:25], v[92:93], s[14:15], v[128:129]
	v_fma_f64 v[34:35], v[68:69], s[10:11], v[134:135]
	v_add_f64 v[92:93], v[162:163], -v[22:23]
	v_add_f64 v[128:129], v[30:31], -v[64:65]
	;; [unrolled: 1-line block ×4, first 2 shown]
	v_fma_f64 v[18:19], v[68:69], s[6:7], v[18:19]
	v_add_f64 v[132:133], v[8:9], v[70:71]
	v_fma_f64 v[123:124], v[123:124], -0.5, v[8:9]
	v_add_f64 v[134:135], v[74:75], -v[84:85]
	v_fma_f64 v[68:69], v[68:69], s[4:5], v[76:77]
	v_fma_f64 v[76:77], v[136:137], s[10:11], v[130:131]
	v_add_f64 v[130:131], v[70:71], v[80:81]
	v_add_f64 v[92:93], v[92:93], v[128:129]
	;; [unrolled: 1-line block ×3, first 2 shown]
	v_fma_f64 v[128:129], v[136:137], s[4:5], v[18:19]
	v_add_f64 v[132:133], v[132:133], v[72:73]
	v_fma_f64 v[136:137], v[134:135], s[2:3], v[123:124]
	v_add_f64 v[22:23], v[26:27], v[30:31]
	v_fma_f64 v[123:124], v[134:135], s[6:7], v[123:124]
	v_fma_f64 v[8:9], v[130:131], -0.5, v[8:9]
	v_fma_f64 v[18:19], v[92:93], s[14:15], v[68:69]
	v_fma_f64 v[30:31], v[64:65], s[14:15], v[76:77]
	;; [unrolled: 1-line block ×3, first 2 shown]
	v_add_f64 v[64:65], v[132:133], v[82:83]
	v_fma_f64 v[68:69], v[138:139], s[4:5], v[136:137]
	v_add_f64 v[76:77], v[70:71], -v[72:73]
	v_add_f64 v[128:129], v[80:81], -v[82:83]
	v_fma_f64 v[130:131], v[138:139], s[6:7], v[8:9]
	v_add_f64 v[132:133], v[72:73], -v[70:71]
	v_add_f64 v[136:137], v[82:83], -v[80:81]
	v_fma_f64 v[8:9], v[138:139], s[2:3], v[8:9]
	v_fma_f64 v[34:35], v[92:93], s[14:15], v[34:35]
	v_add_f64 v[92:93], v[78:79], v[66:67]
	v_add_f64 v[140:141], v[10:11], v[74:75]
	;; [unrolled: 1-line block ×3, first 2 shown]
	v_fma_f64 v[128:129], v[134:135], s[4:5], v[130:131]
	v_add_f64 v[70:71], v[70:71], -v[80:81]
	v_add_f64 v[130:131], v[132:133], v[136:137]
	v_fma_f64 v[132:133], v[134:135], s[10:11], v[8:9]
	v_add_f64 v[134:135], v[74:75], v[84:85]
	v_fma_f64 v[92:93], v[92:93], -0.5, v[10:11]
	v_fma_f64 v[123:124], v[138:139], s[10:11], v[123:124]
	v_add_f64 v[136:137], v[140:141], v[78:79]
	v_add_f64 v[82:83], v[72:73], -v[82:83]
	v_add_f64 v[8:9], v[64:65], v[80:81]
	v_fma_f64 v[64:65], v[76:77], s[14:15], v[68:69]
	v_fma_f64 v[72:73], v[130:131], s[14:15], v[128:129]
	v_fma_f64 v[10:11], v[134:135], -0.5, v[10:11]
	v_fma_f64 v[138:139], v[70:71], s[6:7], v[92:93]
	v_fma_f64 v[68:69], v[76:77], s[14:15], v[123:124]
	;; [unrolled: 1-line block ×3, first 2 shown]
	v_add_f64 v[80:81], v[136:137], v[66:67]
	v_add_f64 v[128:129], v[74:75], -v[78:79]
	v_add_f64 v[130:131], v[88:89], v[98:99]
	v_add_f64 v[132:133], v[84:85], -v[66:67]
	v_fma_f64 v[92:93], v[70:71], s[2:3], v[92:93]
	v_fma_f64 v[134:135], v[82:83], s[2:3], v[10:11]
	v_add_f64 v[74:75], v[78:79], -v[74:75]
	v_add_f64 v[66:67], v[66:67], -v[84:85]
	v_fma_f64 v[10:11], v[82:83], s[6:7], v[10:11]
	v_add_f64 v[78:79], v[4:5], v[86:87]
	v_add_f64 v[140:141], v[86:87], v[100:101]
	v_fma_f64 v[123:124], v[82:83], s[10:11], v[138:139]
	v_fma_f64 v[130:131], v[130:131], -0.5, v[4:5]
	v_add_f64 v[136:137], v[90:91], -v[102:103]
	v_add_f64 v[128:129], v[128:129], v[132:133]
	v_fma_f64 v[82:83], v[82:83], s[4:5], v[92:93]
	v_fma_f64 v[92:93], v[70:71], s[10:11], v[134:135]
	v_add_f64 v[132:133], v[74:75], v[66:67]
	v_fma_f64 v[134:135], v[70:71], s[4:5], v[10:11]
	v_add_f64 v[138:139], v[78:79], v[88:89]
	v_add_f64 v[144:145], v[94:95], -v[96:97]
	v_fma_f64 v[4:5], v[140:141], -0.5, v[4:5]
	v_fma_f64 v[142:143], v[136:137], s[2:3], v[130:131]
	v_add_f64 v[10:11], v[80:81], v[84:85]
	v_fma_f64 v[66:67], v[128:129], s[14:15], v[123:124]
	v_fma_f64 v[70:71], v[128:129], s[14:15], v[82:83]
	;; [unrolled: 1-line block ×4, first 2 shown]
	v_add_f64 v[80:81], v[138:139], v[98:99]
	v_add_f64 v[84:85], v[86:87], -v[88:89]
	v_add_f64 v[92:93], v[6:7], v[90:91]
	v_add_f64 v[128:129], v[100:101], -v[98:99]
	v_fma_f64 v[130:131], v[136:137], s[6:7], v[130:131]
	v_fma_f64 v[132:133], v[144:145], s[6:7], v[4:5]
	v_add_f64 v[134:135], v[88:89], -v[86:87]
	v_add_f64 v[138:139], v[98:99], -v[100:101]
	v_fma_f64 v[4:5], v[144:145], s[2:3], v[4:5]
	v_fma_f64 v[82:83], v[144:145], s[4:5], v[142:143]
	v_add_f64 v[123:124], v[94:95], v[96:97]
	v_add_f64 v[92:93], v[92:93], v[94:95]
	;; [unrolled: 1-line block ×3, first 2 shown]
	v_fma_f64 v[128:129], v[144:145], s[10:11], v[130:131]
	v_fma_f64 v[130:131], v[136:137], s[4:5], v[132:133]
	v_add_f64 v[132:133], v[134:135], v[138:139]
	v_fma_f64 v[134:135], v[136:137], s[10:11], v[4:5]
	v_add_f64 v[138:139], v[90:91], v[102:103]
	v_fma_f64 v[123:124], v[123:124], -0.5, v[6:7]
	v_add_f64 v[86:87], v[86:87], -v[100:101]
	v_add_f64 v[136:137], v[92:93], v[96:97]
	v_add_f64 v[98:99], v[88:89], -v[98:99]
	v_add_f64 v[4:5], v[80:81], v[100:101]
	v_fma_f64 v[80:81], v[84:85], s[14:15], v[82:83]
	v_fma_f64 v[88:89], v[132:133], s[14:15], v[130:131]
	;; [unrolled: 1-line block ×3, first 2 shown]
	v_fma_f64 v[82:83], v[138:139], -0.5, v[6:7]
	v_add_f64 v[132:133], v[0:1], v[106:107]
	v_fma_f64 v[140:141], v[86:87], s[6:7], v[123:124]
	v_fma_f64 v[84:85], v[84:85], s[14:15], v[128:129]
	v_add_f64 v[6:7], v[136:137], v[102:103]
	v_add_f64 v[128:129], v[90:91], -v[94:95]
	v_add_f64 v[130:131], v[102:103], -v[96:97]
	v_fma_f64 v[123:124], v[86:87], s[2:3], v[123:124]
	v_add_f64 v[134:135], v[60:61], v[62:63]
	v_fma_f64 v[136:137], v[98:99], s[2:3], v[82:83]
	v_add_f64 v[90:91], v[94:95], -v[90:91]
	v_add_f64 v[94:95], v[96:97], -v[102:103]
	v_add_f64 v[102:103], v[132:133], v[60:61]
	v_fma_f64 v[100:101], v[98:99], s[10:11], v[140:141]
	v_fma_f64 v[82:83], v[98:99], s[6:7], v[82:83]
	v_add_f64 v[96:97], v[128:129], v[130:131]
	v_fma_f64 v[98:99], v[98:99], s[4:5], v[123:124]
	v_fma_f64 v[123:124], v[134:135], -0.5, v[0:1]
	v_add_f64 v[128:129], v[50:51], -v[56:57]
	v_fma_f64 v[130:131], v[86:87], s[10:11], v[136:137]
	v_add_f64 v[94:95], v[90:91], v[94:95]
	v_add_f64 v[134:135], v[106:107], v[104:105]
	;; [unrolled: 1-line block ×3, first 2 shown]
	v_fma_f64 v[132:133], v[86:87], s[4:5], v[82:83]
	v_fma_f64 v[82:83], v[96:97], s[14:15], v[100:101]
	;; [unrolled: 1-line block ×4, first 2 shown]
	v_add_f64 v[98:99], v[52:53], -v[54:55]
	v_fma_f64 v[90:91], v[94:95], s[14:15], v[130:131]
	v_fma_f64 v[100:101], v[134:135], -0.5, v[0:1]
	v_add_f64 v[0:1], v[102:103], v[104:105]
	v_add_f64 v[102:103], v[106:107], -v[60:61]
	v_add_f64 v[130:131], v[104:105], -v[62:63]
	v_fma_f64 v[123:124], v[128:129], s[6:7], v[123:124]
	v_fma_f64 v[94:95], v[94:95], s[14:15], v[132:133]
	;; [unrolled: 1-line block ×3, first 2 shown]
	v_add_f64 v[132:133], v[2:3], v[50:51]
	v_add_f64 v[134:135], v[52:53], v[54:55]
	v_fma_f64 v[136:137], v[98:99], s[6:7], v[100:101]
	v_add_f64 v[138:139], v[60:61], -v[106:107]
	v_add_f64 v[140:141], v[62:63], -v[104:105]
	v_add_f64 v[102:103], v[102:103], v[130:131]
	v_fma_f64 v[123:124], v[98:99], s[10:11], v[123:124]
	v_fma_f64 v[98:99], v[98:99], s[2:3], v[100:101]
	v_add_f64 v[130:131], v[132:133], v[52:53]
	v_fma_f64 v[132:133], v[134:135], -0.5, v[2:3]
	v_add_f64 v[106:107], v[106:107], -v[104:105]
	v_fma_f64 v[104:105], v[128:129], s[4:5], v[136:137]
	v_add_f64 v[134:135], v[138:139], v[140:141]
	v_fma_f64 v[96:97], v[102:103], s[14:15], v[96:97]
	v_fma_f64 v[100:101], v[102:103], s[14:15], v[123:124]
	;; [unrolled: 1-line block ×3, first 2 shown]
	v_add_f64 v[123:124], v[50:51], v[56:57]
	v_add_f64 v[102:103], v[130:131], v[54:55]
	v_fma_f64 v[128:129], v[106:107], s[6:7], v[132:133]
	v_add_f64 v[62:63], v[60:61], -v[62:63]
	v_fma_f64 v[60:61], v[134:135], s[14:15], v[104:105]
	v_add_f64 v[130:131], v[44:45], v[46:47]
	v_add_f64 v[136:137], v[50:51], -v[52:53]
	v_fma_f64 v[104:105], v[134:135], s[14:15], v[98:99]
	v_fma_f64 v[98:99], v[123:124], -0.5, v[2:3]
	v_add_f64 v[138:139], v[56:57], -v[54:55]
	v_add_f64 v[2:3], v[102:103], v[56:57]
	v_fma_f64 v[102:103], v[62:63], s[10:11], v[128:129]
	v_add_f64 v[123:124], v[12:13], v[42:43]
	v_fma_f64 v[128:129], v[130:131], -0.5, v[12:13]
	v_add_f64 v[130:131], v[38:39], -v[48:49]
	v_fma_f64 v[132:133], v[106:107], s[2:3], v[132:133]
	v_add_f64 v[50:51], v[52:53], -v[50:51]
	v_add_f64 v[52:53], v[54:55], -v[56:57]
	v_fma_f64 v[54:55], v[62:63], s[6:7], v[98:99]
	v_add_f64 v[134:135], v[136:137], v[138:139]
	v_fma_f64 v[136:137], v[62:63], s[2:3], v[98:99]
	v_add_f64 v[56:57], v[123:124], v[44:45]
	v_fma_f64 v[98:99], v[130:131], s[2:3], v[128:129]
	v_add_f64 v[123:124], v[40:41], -v[36:37]
	v_fma_f64 v[62:63], v[62:63], s[4:5], v[132:133]
	v_add_f64 v[50:51], v[50:51], v[52:53]
	v_fma_f64 v[52:53], v[106:107], s[4:5], v[54:55]
	v_add_f64 v[138:139], v[42:43], -v[44:45]
	v_add_f64 v[140:141], v[58:59], -v[46:47]
	v_add_f64 v[132:133], v[42:43], v[58:59]
	v_fma_f64 v[136:137], v[106:107], s[10:11], v[136:137]
	v_add_f64 v[54:55], v[56:57], v[46:47]
	v_fma_f64 v[56:57], v[123:124], s[4:5], v[98:99]
	v_fma_f64 v[98:99], v[134:135], s[14:15], v[102:103]
	;; [unrolled: 1-line block ×4, first 2 shown]
	v_add_f64 v[52:53], v[40:41], v[36:37]
	v_add_f64 v[134:135], v[38:39], v[48:49]
	;; [unrolled: 1-line block ×3, first 2 shown]
	v_fma_f64 v[132:133], v[132:133], -0.5, v[12:13]
	v_fma_f64 v[62:63], v[50:51], s[14:15], v[136:137]
	v_add_f64 v[12:13], v[54:55], v[58:59]
	v_fma_f64 v[54:55], v[130:131], s[6:7], v[128:129]
	v_add_f64 v[128:129], v[44:45], -v[42:43]
	v_add_f64 v[136:137], v[46:47], -v[58:59]
	v_add_f64 v[140:141], v[14:15], v[38:39]
	v_fma_f64 v[52:53], v[52:53], -0.5, v[14:15]
	v_add_f64 v[42:43], v[42:43], -v[58:59]
	v_add_f64 v[44:45], v[44:45], -v[46:47]
	v_fma_f64 v[14:15], v[134:135], -0.5, v[14:15]
	v_fma_f64 v[50:51], v[138:139], s[14:15], v[56:57]
	v_fma_f64 v[56:57], v[123:124], s[6:7], v[132:133]
	;; [unrolled: 1-line block ×3, first 2 shown]
	v_add_f64 v[46:47], v[128:129], v[136:137]
	v_fma_f64 v[58:59], v[123:124], s[2:3], v[132:133]
	v_add_f64 v[123:124], v[140:141], v[40:41]
	v_fma_f64 v[128:129], v[42:43], s[6:7], v[52:53]
	v_add_f64 v[132:133], v[38:39], -v[40:41]
	v_add_f64 v[134:135], v[48:49], -v[36:37]
	v_fma_f64 v[52:53], v[42:43], s[2:3], v[52:53]
	v_fma_f64 v[136:137], v[44:45], s[2:3], v[14:15]
	v_add_f64 v[38:39], v[40:41], -v[38:39]
	v_add_f64 v[40:41], v[36:37], -v[48:49]
	v_fma_f64 v[14:15], v[44:45], s[6:7], v[14:15]
	v_fma_f64 v[56:57], v[130:131], s[4:5], v[56:57]
	v_fma_f64 v[58:59], v[130:131], s[10:11], v[58:59]
	v_add_f64 v[123:124], v[123:124], v[36:37]
	v_fma_f64 v[128:129], v[44:45], s[10:11], v[128:129]
	v_add_f64 v[130:131], v[132:133], v[134:135]
	v_fma_f64 v[132:133], v[44:45], s[4:5], v[52:53]
	v_fma_f64 v[134:135], v[42:43], s[10:11], v[136:137]
	v_add_f64 v[136:137], v[38:39], v[40:41]
	v_fma_f64 v[140:141], v[42:43], s[4:5], v[14:15]
	v_fma_f64 v[36:37], v[138:139], s[14:15], v[54:55]
	;; [unrolled: 1-line block ×4, first 2 shown]
	v_add_f64 v[14:15], v[123:124], v[48:49]
	v_fma_f64 v[52:53], v[130:131], s[14:15], v[128:129]
	v_fma_f64 v[38:39], v[130:131], s[14:15], v[132:133]
	;; [unrolled: 1-line block ×4, first 2 shown]
	ds_write_b128 v125, v[20:23]
	ds_write_b128 v125, v[32:35] offset:7200
	ds_write_b128 v125, v[28:31] offset:14400
	ds_write_b128 v125, v[24:27] offset:21600
	ds_write_b128 v125, v[16:19] offset:28800
	ds_write_b128 v127, v[8:11]
	ds_write_b128 v127, v[64:67] offset:7200
	ds_write_b128 v127, v[72:75] offset:14400
	ds_write_b128 v127, v[76:79] offset:21600
	ds_write_b128 v127, v[68:71] offset:28800
	;; [unrolled: 5-line block ×3, first 2 shown]
	ds_write_b128 v125, v[0:3] offset:4320
	ds_write_b128 v125, v[96:99] offset:11520
	;; [unrolled: 1-line block ×10, first 2 shown]
	s_waitcnt lgkmcnt(0)
	s_barrier
	ds_read_b128 v[4:7], v125
	s_add_u32 s6, s8, 0x8c00
	v_lshlrev_b32_e32 v0, 4, v108
	s_addc_u32 s7, s9, 0
	v_sub_u32_e32 v10, 0, v0
	v_cmp_ne_u32_e64 s[2:3], 0, v108
                                        ; implicit-def: $vgpr2_vgpr3
                                        ; implicit-def: $vgpr8_vgpr9
	s_and_saveexec_b64 s[4:5], s[2:3]
	s_xor_b64 s[4:5], exec, s[4:5]
	s_cbranch_execz .LBB0_25
; %bb.24:
	v_mov_b32_e32 v109, 0
	v_lshlrev_b64 v[0:1], 4, v[108:109]
	v_mov_b32_e32 v2, s7
	v_add_co_u32_e64 v0, s[2:3], s6, v0
	v_addc_co_u32_e64 v1, s[2:3], v2, v1, s[2:3]
	global_load_dwordx4 v[11:14], v[0:1], off
	ds_read_b128 v[0:3], v10 offset:36000
	s_waitcnt lgkmcnt(0)
	v_add_f64 v[8:9], v[4:5], -v[0:1]
	v_add_f64 v[15:16], v[6:7], v[2:3]
	v_add_f64 v[2:3], v[6:7], -v[2:3]
	v_add_f64 v[0:1], v[4:5], v[0:1]
	v_mul_f64 v[6:7], v[8:9], 0.5
	v_mul_f64 v[4:5], v[15:16], 0.5
	;; [unrolled: 1-line block ×3, first 2 shown]
	s_waitcnt vmcnt(0)
	v_mul_f64 v[8:9], v[6:7], v[13:14]
	v_fma_f64 v[15:16], v[4:5], v[13:14], v[2:3]
	v_fma_f64 v[2:3], v[4:5], v[13:14], -v[2:3]
	v_fma_f64 v[17:18], v[0:1], 0.5, v[8:9]
	v_fma_f64 v[0:1], v[0:1], 0.5, -v[8:9]
	v_fma_f64 v[8:9], -v[11:12], v[6:7], v[15:16]
	v_fma_f64 v[2:3], -v[11:12], v[6:7], v[2:3]
	v_fma_f64 v[13:14], v[4:5], v[11:12], v[17:18]
	v_fma_f64 v[0:1], -v[4:5], v[11:12], v[0:1]
                                        ; implicit-def: $vgpr4_vgpr5
	ds_write_b64 v125, v[13:14]
.LBB0_25:
	s_andn2_saveexec_b64 s[2:3], s[4:5]
	s_cbranch_execz .LBB0_27
; %bb.26:
	s_waitcnt lgkmcnt(0)
	v_add_f64 v[2:3], v[4:5], v[6:7]
	v_mov_b32_e32 v13, 0
	ds_read_b64 v[11:12], v13 offset:18008
	v_add_f64 v[0:1], v[4:5], -v[6:7]
	v_mov_b32_e32 v8, 0
	v_mov_b32_e32 v9, 0
	s_waitcnt lgkmcnt(0)
	v_xor_b32_e32 v12, 0x80000000, v12
	ds_write_b64 v13, v[11:12] offset:18008
	ds_write_b64 v125, v[2:3]
	v_mov_b32_e32 v2, v8
	v_mov_b32_e32 v3, v9
.LBB0_27:
	s_or_b64 exec, exec, s[2:3]
	v_mov_b32_e32 v113, 0
	s_waitcnt lgkmcnt(0)
	v_lshlrev_b64 v[4:5], 4, v[112:113]
	v_mov_b32_e32 v6, s7
	v_add_co_u32_e64 v4, s[2:3], s6, v4
	v_addc_co_u32_e64 v5, s[2:3], v6, v5, s[2:3]
	global_load_dwordx4 v[4:7], v[4:5], off
	v_mov_b32_e32 v115, v113
	v_lshlrev_b64 v[11:12], 4, v[114:115]
	v_mov_b32_e32 v13, s7
	v_add_co_u32_e64 v11, s[2:3], s6, v11
	v_addc_co_u32_e64 v12, s[2:3], v13, v12, s[2:3]
	global_load_dwordx4 v[11:14], v[11:12], off
	ds_write_b64 v125, v[8:9] offset:8
	ds_write_b128 v10, v[0:3] offset:36000
	ds_read_b128 v[0:3], v127
	ds_read_b128 v[15:18], v10 offset:34560
	v_mov_b32_e32 v119, v113
	v_mov_b32_e32 v27, s7
	;; [unrolled: 1-line block ×3, first 2 shown]
	v_add_u32_e32 v112, 0x32a, v108
	s_waitcnt lgkmcnt(0)
	v_add_f64 v[8:9], v[0:1], -v[15:16]
	v_add_f64 v[19:20], v[2:3], v[17:18]
	v_add_f64 v[2:3], v[2:3], -v[17:18]
	v_add_f64 v[0:1], v[0:1], v[15:16]
	v_lshlrev_b64 v[15:16], 4, v[118:119]
	v_mov_b32_e32 v118, v113
	v_mul_f64 v[17:18], v[8:9], 0.5
	v_mul_f64 v[19:20], v[19:20], 0.5
	;; [unrolled: 1-line block ×3, first 2 shown]
	s_waitcnt vmcnt(1)
	v_mul_f64 v[8:9], v[17:18], v[6:7]
	v_fma_f64 v[21:22], v[19:20], v[6:7], v[2:3]
	v_fma_f64 v[6:7], v[19:20], v[6:7], -v[2:3]
	v_fma_f64 v[23:24], v[0:1], 0.5, v[8:9]
	v_fma_f64 v[25:26], v[0:1], 0.5, -v[8:9]
	v_add_co_u32_e64 v0, s[2:3], s6, v15
	v_addc_co_u32_e64 v1, s[2:3], v27, v16, s[2:3]
	global_load_dwordx4 v[0:3], v[0:1], off
	v_fma_f64 v[8:9], -v[4:5], v[17:18], v[21:22]
	v_fma_f64 v[17:18], -v[4:5], v[17:18], v[6:7]
	v_fma_f64 v[6:7], v[19:20], v[4:5], v[23:24]
	v_fma_f64 v[15:16], -v[19:20], v[4:5], v[25:26]
	ds_write_b128 v127, v[6:9]
	ds_write_b128 v10, v[15:18] offset:34560
	ds_read_b128 v[4:7], v126
	ds_read_b128 v[15:18], v10 offset:33120
	s_waitcnt lgkmcnt(0)
	v_add_f64 v[8:9], v[4:5], -v[15:16]
	v_add_f64 v[19:20], v[6:7], v[17:18]
	v_add_f64 v[6:7], v[6:7], -v[17:18]
	v_add_f64 v[4:5], v[4:5], v[15:16]
	v_mul_f64 v[8:9], v[8:9], 0.5
	v_mul_f64 v[17:18], v[19:20], 0.5
	;; [unrolled: 1-line block ×3, first 2 shown]
	v_lshlrev_b64 v[19:20], 4, v[122:123]
	v_mov_b32_e32 v122, v113
	s_waitcnt vmcnt(1)
	v_mul_f64 v[15:16], v[8:9], v[13:14]
	v_fma_f64 v[21:22], v[17:18], v[13:14], v[6:7]
	v_fma_f64 v[13:14], v[17:18], v[13:14], -v[6:7]
	v_fma_f64 v[23:24], v[4:5], 0.5, v[15:16]
	v_fma_f64 v[25:26], v[4:5], 0.5, -v[15:16]
	v_add_co_u32_e64 v4, s[2:3], s6, v19
	v_addc_co_u32_e64 v5, s[2:3], v27, v20, s[2:3]
	global_load_dwordx4 v[4:7], v[4:5], off
	v_fma_f64 v[15:16], -v[11:12], v[8:9], v[21:22]
	v_fma_f64 v[19:20], -v[11:12], v[8:9], v[13:14]
	v_fma_f64 v[13:14], v[17:18], v[11:12], v[23:24]
	v_fma_f64 v[17:18], -v[17:18], v[11:12], v[25:26]
	ds_write_b128 v126, v[13:16]
	ds_write_b128 v10, v[17:20] offset:33120
	ds_read_b128 v[11:14], v125 offset:4320
	ds_read_b128 v[15:18], v10 offset:31680
	s_waitcnt lgkmcnt(0)
	v_add_f64 v[8:9], v[11:12], -v[15:16]
	v_add_f64 v[19:20], v[13:14], v[17:18]
	v_add_f64 v[13:14], v[13:14], -v[17:18]
	v_add_f64 v[11:12], v[11:12], v[15:16]
	v_lshlrev_b64 v[17:18], 4, v[121:122]
	v_mov_b32_e32 v121, v113
	v_mul_f64 v[8:9], v[8:9], 0.5
	v_mul_f64 v[19:20], v[19:20], 0.5
	;; [unrolled: 1-line block ×3, first 2 shown]
	s_waitcnt vmcnt(1)
	v_mul_f64 v[15:16], v[8:9], v[2:3]
	v_fma_f64 v[21:22], v[19:20], v[2:3], v[13:14]
	v_fma_f64 v[2:3], v[19:20], v[2:3], -v[13:14]
	v_fma_f64 v[23:24], v[11:12], 0.5, v[15:16]
	v_fma_f64 v[25:26], v[11:12], 0.5, -v[15:16]
	v_add_co_u32_e64 v11, s[2:3], s6, v17
	v_addc_co_u32_e64 v12, s[2:3], v27, v18, s[2:3]
	global_load_dwordx4 v[11:14], v[11:12], off
	v_fma_f64 v[17:18], -v[0:1], v[8:9], v[21:22]
	v_fma_f64 v[15:16], v[19:20], v[0:1], v[23:24]
	v_fma_f64 v[2:3], -v[0:1], v[8:9], v[2:3]
	v_fma_f64 v[0:1], -v[19:20], v[0:1], v[25:26]
	ds_write_b128 v125, v[15:18] offset:4320
	ds_write_b128 v10, v[0:3] offset:31680
	ds_read_b128 v[0:3], v125 offset:5760
	ds_read_b128 v[15:18], v10 offset:30240
	s_waitcnt lgkmcnt(0)
	v_add_f64 v[8:9], v[0:1], -v[15:16]
	v_add_f64 v[19:20], v[2:3], v[17:18]
	v_add_f64 v[2:3], v[2:3], -v[17:18]
	v_add_f64 v[0:1], v[0:1], v[15:16]
	v_lshlrev_b64 v[15:16], 4, v[120:121]
	v_mul_f64 v[17:18], v[8:9], 0.5
	v_mul_f64 v[19:20], v[19:20], 0.5
	;; [unrolled: 1-line block ×3, first 2 shown]
	s_waitcnt vmcnt(1)
	v_mul_f64 v[8:9], v[17:18], v[6:7]
	v_fma_f64 v[21:22], v[19:20], v[6:7], v[2:3]
	v_fma_f64 v[6:7], v[19:20], v[6:7], -v[2:3]
	v_fma_f64 v[23:24], v[0:1], 0.5, v[8:9]
	v_fma_f64 v[25:26], v[0:1], 0.5, -v[8:9]
	v_add_co_u32_e64 v0, s[2:3], s6, v15
	v_addc_co_u32_e64 v1, s[2:3], v27, v16, s[2:3]
	global_load_dwordx4 v[0:3], v[0:1], off
	v_fma_f64 v[8:9], -v[4:5], v[17:18], v[21:22]
	v_fma_f64 v[17:18], -v[4:5], v[17:18], v[6:7]
	v_fma_f64 v[6:7], v[19:20], v[4:5], v[23:24]
	v_fma_f64 v[15:16], -v[19:20], v[4:5], v[25:26]
	ds_write_b128 v125, v[6:9] offset:5760
	ds_write_b128 v10, v[15:18] offset:30240
	ds_read_b128 v[4:7], v125 offset:7200
	ds_read_b128 v[15:18], v10 offset:28800
	s_waitcnt lgkmcnt(0)
	v_add_f64 v[8:9], v[4:5], -v[15:16]
	v_add_f64 v[19:20], v[6:7], v[17:18]
	v_add_f64 v[6:7], v[6:7], -v[17:18]
	v_add_f64 v[4:5], v[4:5], v[15:16]
	v_mul_f64 v[8:9], v[8:9], 0.5
	v_mul_f64 v[17:18], v[19:20], 0.5
	;; [unrolled: 1-line block ×3, first 2 shown]
	v_lshlrev_b64 v[19:20], 4, v[117:118]
	v_mov_b32_e32 v117, v113
	s_waitcnt vmcnt(1)
	v_mul_f64 v[15:16], v[8:9], v[13:14]
	v_fma_f64 v[21:22], v[17:18], v[13:14], v[6:7]
	v_fma_f64 v[13:14], v[17:18], v[13:14], -v[6:7]
	v_fma_f64 v[23:24], v[4:5], 0.5, v[15:16]
	v_fma_f64 v[25:26], v[4:5], 0.5, -v[15:16]
	v_add_co_u32_e64 v4, s[2:3], s6, v19
	v_addc_co_u32_e64 v5, s[2:3], v27, v20, s[2:3]
	global_load_dwordx4 v[4:7], v[4:5], off
	v_fma_f64 v[15:16], -v[11:12], v[8:9], v[21:22]
	v_fma_f64 v[19:20], -v[11:12], v[8:9], v[13:14]
	v_fma_f64 v[13:14], v[17:18], v[11:12], v[23:24]
	v_fma_f64 v[17:18], -v[17:18], v[11:12], v[25:26]
	ds_write_b128 v125, v[13:16] offset:7200
	ds_write_b128 v10, v[17:20] offset:28800
	ds_read_b128 v[11:14], v125 offset:8640
	ds_read_b128 v[15:18], v10 offset:27360
	s_waitcnt lgkmcnt(0)
	v_add_f64 v[8:9], v[11:12], -v[15:16]
	v_add_f64 v[19:20], v[13:14], v[17:18]
	v_add_f64 v[13:14], v[13:14], -v[17:18]
	v_add_f64 v[11:12], v[11:12], v[15:16]
	v_lshlrev_b64 v[17:18], 4, v[116:117]
	v_mul_f64 v[8:9], v[8:9], 0.5
	v_mul_f64 v[19:20], v[19:20], 0.5
	;; [unrolled: 1-line block ×3, first 2 shown]
	s_waitcnt vmcnt(1)
	v_mul_f64 v[15:16], v[8:9], v[2:3]
	v_fma_f64 v[21:22], v[19:20], v[2:3], v[13:14]
	v_fma_f64 v[2:3], v[19:20], v[2:3], -v[13:14]
	v_fma_f64 v[23:24], v[11:12], 0.5, v[15:16]
	v_fma_f64 v[25:26], v[11:12], 0.5, -v[15:16]
	v_add_co_u32_e64 v11, s[2:3], s6, v17
	v_addc_co_u32_e64 v12, s[2:3], v27, v18, s[2:3]
	global_load_dwordx4 v[11:14], v[11:12], off
	v_fma_f64 v[17:18], -v[0:1], v[8:9], v[21:22]
	v_fma_f64 v[15:16], v[19:20], v[0:1], v[23:24]
	v_fma_f64 v[2:3], -v[0:1], v[8:9], v[2:3]
	v_fma_f64 v[0:1], -v[19:20], v[0:1], v[25:26]
	ds_write_b128 v125, v[15:18] offset:8640
	ds_write_b128 v10, v[0:3] offset:27360
	ds_read_b128 v[0:3], v125 offset:10080
	ds_read_b128 v[15:18], v10 offset:25920
	s_waitcnt lgkmcnt(0)
	v_add_f64 v[8:9], v[0:1], -v[15:16]
	v_add_f64 v[19:20], v[2:3], v[17:18]
	v_add_f64 v[2:3], v[2:3], -v[17:18]
	v_add_f64 v[0:1], v[0:1], v[15:16]
	v_lshlrev_b64 v[15:16], 4, v[112:113]
	v_add_u32_e32 v112, 0x384, v108
	v_mul_f64 v[17:18], v[8:9], 0.5
	v_mul_f64 v[19:20], v[19:20], 0.5
	;; [unrolled: 1-line block ×3, first 2 shown]
	s_waitcnt vmcnt(1)
	v_mul_f64 v[8:9], v[17:18], v[6:7]
	v_fma_f64 v[21:22], v[19:20], v[6:7], v[2:3]
	v_fma_f64 v[6:7], v[19:20], v[6:7], -v[2:3]
	v_fma_f64 v[23:24], v[0:1], 0.5, v[8:9]
	v_fma_f64 v[25:26], v[0:1], 0.5, -v[8:9]
	v_add_co_u32_e64 v0, s[2:3], s6, v15
	v_addc_co_u32_e64 v1, s[2:3], v27, v16, s[2:3]
	global_load_dwordx4 v[0:3], v[0:1], off
	v_fma_f64 v[8:9], -v[4:5], v[17:18], v[21:22]
	v_fma_f64 v[17:18], -v[4:5], v[17:18], v[6:7]
	v_fma_f64 v[6:7], v[19:20], v[4:5], v[23:24]
	v_fma_f64 v[15:16], -v[19:20], v[4:5], v[25:26]
	ds_write_b128 v125, v[6:9] offset:10080
	ds_write_b128 v10, v[15:18] offset:25920
	ds_read_b128 v[4:7], v125 offset:11520
	ds_read_b128 v[15:18], v10 offset:24480
	s_waitcnt lgkmcnt(0)
	v_add_f64 v[8:9], v[4:5], -v[15:16]
	v_add_f64 v[19:20], v[6:7], v[17:18]
	v_add_f64 v[6:7], v[6:7], -v[17:18]
	v_add_f64 v[4:5], v[4:5], v[15:16]
	v_mul_f64 v[8:9], v[8:9], 0.5
	v_mul_f64 v[17:18], v[19:20], 0.5
	;; [unrolled: 1-line block ×3, first 2 shown]
	v_lshlrev_b64 v[19:20], 4, v[112:113]
	v_add_u32_e32 v112, 0x3de, v108
	s_waitcnt vmcnt(1)
	v_mul_f64 v[15:16], v[8:9], v[13:14]
	v_fma_f64 v[21:22], v[17:18], v[13:14], v[6:7]
	v_fma_f64 v[13:14], v[17:18], v[13:14], -v[6:7]
	v_fma_f64 v[23:24], v[4:5], 0.5, v[15:16]
	v_fma_f64 v[25:26], v[4:5], 0.5, -v[15:16]
	v_add_co_u32_e64 v4, s[2:3], s6, v19
	v_addc_co_u32_e64 v5, s[2:3], v27, v20, s[2:3]
	global_load_dwordx4 v[4:7], v[4:5], off
	v_fma_f64 v[15:16], -v[11:12], v[8:9], v[21:22]
	v_fma_f64 v[19:20], -v[11:12], v[8:9], v[13:14]
	v_fma_f64 v[13:14], v[17:18], v[11:12], v[23:24]
	v_fma_f64 v[17:18], -v[17:18], v[11:12], v[25:26]
	ds_write_b128 v125, v[13:16] offset:11520
	ds_write_b128 v10, v[17:20] offset:24480
	ds_read_b128 v[11:14], v125 offset:12960
	ds_read_b128 v[15:18], v10 offset:23040
	s_waitcnt lgkmcnt(0)
	v_add_f64 v[8:9], v[11:12], -v[15:16]
	v_add_f64 v[19:20], v[13:14], v[17:18]
	v_add_f64 v[13:14], v[13:14], -v[17:18]
	v_add_f64 v[11:12], v[11:12], v[15:16]
	v_lshlrev_b64 v[17:18], 4, v[112:113]
	v_mul_f64 v[8:9], v[8:9], 0.5
	v_mul_f64 v[19:20], v[19:20], 0.5
	;; [unrolled: 1-line block ×3, first 2 shown]
	s_waitcnt vmcnt(1)
	v_mul_f64 v[15:16], v[8:9], v[2:3]
	v_fma_f64 v[21:22], v[19:20], v[2:3], v[13:14]
	v_fma_f64 v[2:3], v[19:20], v[2:3], -v[13:14]
	v_fma_f64 v[23:24], v[11:12], 0.5, v[15:16]
	v_fma_f64 v[25:26], v[11:12], 0.5, -v[15:16]
	v_add_co_u32_e64 v11, s[2:3], s6, v17
	v_addc_co_u32_e64 v12, s[2:3], v27, v18, s[2:3]
	global_load_dwordx4 v[11:14], v[11:12], off
	v_fma_f64 v[17:18], -v[0:1], v[8:9], v[21:22]
	v_fma_f64 v[15:16], v[19:20], v[0:1], v[23:24]
	v_fma_f64 v[2:3], -v[0:1], v[8:9], v[2:3]
	v_fma_f64 v[0:1], -v[19:20], v[0:1], v[25:26]
	ds_write_b128 v125, v[15:18] offset:12960
	ds_write_b128 v10, v[0:3] offset:23040
	ds_read_b128 v[0:3], v125 offset:14400
	ds_read_b128 v[15:18], v10 offset:21600
	s_waitcnt lgkmcnt(0)
	v_add_f64 v[8:9], v[0:1], -v[15:16]
	v_add_f64 v[19:20], v[2:3], v[17:18]
	v_add_f64 v[2:3], v[2:3], -v[17:18]
	v_add_f64 v[0:1], v[0:1], v[15:16]
	v_mul_f64 v[8:9], v[8:9], 0.5
	v_mul_f64 v[17:18], v[19:20], 0.5
	;; [unrolled: 1-line block ×3, first 2 shown]
	s_waitcnt vmcnt(1)
	v_mul_f64 v[15:16], v[8:9], v[6:7]
	v_fma_f64 v[19:20], v[17:18], v[6:7], v[2:3]
	v_fma_f64 v[6:7], v[17:18], v[6:7], -v[2:3]
	v_fma_f64 v[21:22], v[0:1], 0.5, v[15:16]
	v_fma_f64 v[15:16], v[0:1], 0.5, -v[15:16]
	v_fma_f64 v[2:3], -v[4:5], v[8:9], v[19:20]
	v_fma_f64 v[6:7], -v[4:5], v[8:9], v[6:7]
	v_fma_f64 v[0:1], v[17:18], v[4:5], v[21:22]
	v_fma_f64 v[4:5], -v[17:18], v[4:5], v[15:16]
	ds_write_b128 v125, v[0:3] offset:14400
	ds_write_b128 v10, v[4:7] offset:21600
	ds_read_b128 v[0:3], v125 offset:15840
	ds_read_b128 v[4:7], v10 offset:20160
	s_waitcnt lgkmcnt(0)
	v_add_f64 v[8:9], v[0:1], -v[4:5]
	v_add_f64 v[15:16], v[2:3], v[6:7]
	v_add_f64 v[2:3], v[2:3], -v[6:7]
	v_add_f64 v[0:1], v[0:1], v[4:5]
	v_mul_f64 v[6:7], v[8:9], 0.5
	v_mul_f64 v[8:9], v[15:16], 0.5
	;; [unrolled: 1-line block ×3, first 2 shown]
	s_waitcnt vmcnt(0)
	v_mul_f64 v[4:5], v[6:7], v[13:14]
	v_fma_f64 v[15:16], v[8:9], v[13:14], v[2:3]
	v_fma_f64 v[13:14], v[8:9], v[13:14], -v[2:3]
	v_fma_f64 v[17:18], v[0:1], 0.5, v[4:5]
	v_fma_f64 v[4:5], v[0:1], 0.5, -v[4:5]
	v_fma_f64 v[2:3], -v[11:12], v[6:7], v[15:16]
	v_fma_f64 v[6:7], -v[11:12], v[6:7], v[13:14]
	v_fma_f64 v[0:1], v[8:9], v[11:12], v[17:18]
	v_fma_f64 v[4:5], -v[8:9], v[11:12], v[4:5]
	ds_write_b128 v125, v[0:3] offset:15840
	ds_write_b128 v10, v[4:7] offset:20160
	s_and_saveexec_b64 s[2:3], vcc
	s_cbranch_execz .LBB0_29
; %bb.28:
	v_add_u32_e32 v112, 0x438, v108
	v_lshlrev_b64 v[0:1], 4, v[112:113]
	v_mov_b32_e32 v2, s7
	v_add_co_u32_e32 v0, vcc, s6, v0
	v_addc_co_u32_e32 v1, vcc, v2, v1, vcc
	global_load_dwordx4 v[0:3], v[0:1], off
	ds_read_b128 v[4:7], v125 offset:17280
	ds_read_b128 v[11:14], v10 offset:18720
	s_waitcnt lgkmcnt(0)
	v_add_f64 v[8:9], v[4:5], -v[11:12]
	v_add_f64 v[15:16], v[6:7], v[13:14]
	v_add_f64 v[6:7], v[6:7], -v[13:14]
	v_add_f64 v[4:5], v[4:5], v[11:12]
	v_mul_f64 v[8:9], v[8:9], 0.5
	v_mul_f64 v[13:14], v[15:16], 0.5
	v_mul_f64 v[6:7], v[6:7], 0.5
	s_waitcnt vmcnt(0)
	v_mul_f64 v[11:12], v[8:9], v[2:3]
	v_fma_f64 v[15:16], v[13:14], v[2:3], v[6:7]
	v_fma_f64 v[2:3], v[13:14], v[2:3], -v[6:7]
	v_fma_f64 v[6:7], v[4:5], 0.5, v[11:12]
	v_fma_f64 v[11:12], v[4:5], 0.5, -v[11:12]
	v_fma_f64 v[4:5], -v[0:1], v[8:9], v[15:16]
	v_fma_f64 v[8:9], -v[0:1], v[8:9], v[2:3]
	v_fma_f64 v[2:3], v[13:14], v[0:1], v[6:7]
	v_fma_f64 v[6:7], -v[13:14], v[0:1], v[11:12]
	ds_write_b128 v125, v[2:5] offset:17280
	ds_write_b128 v10, v[6:9] offset:18720
.LBB0_29:
	s_or_b64 exec, exec, s[2:3]
	s_waitcnt lgkmcnt(0)
	s_barrier
	s_and_saveexec_b64 s[2:3], s[0:1]
	s_cbranch_execz .LBB0_32
; %bb.30:
	v_mov_b32_e32 v109, 0
	ds_read_b128 v[2:5], v125
	ds_read_b128 v[6:9], v125 offset:1440
	ds_read_b128 v[10:13], v125 offset:2880
	v_mov_b32_e32 v0, s13
	v_add_co_u32_e32 v1, vcc, s12, v110
	v_lshlrev_b64 v[14:15], 4, v[108:109]
	v_addc_co_u32_e32 v0, vcc, v0, v111, vcc
	v_add_co_u32_e32 v14, vcc, v1, v14
	v_addc_co_u32_e32 v15, vcc, v0, v15, vcc
	s_waitcnt lgkmcnt(2)
	global_store_dwordx4 v[14:15], v[2:5], off
	s_waitcnt lgkmcnt(1)
	global_store_dwordx4 v[14:15], v[6:9], off offset:1440
	s_waitcnt lgkmcnt(0)
	global_store_dwordx4 v[14:15], v[10:13], off offset:2880
	ds_read_b128 v[2:5], v125 offset:4320
	ds_read_b128 v[6:9], v125 offset:5760
	ds_read_b128 v[10:13], v125 offset:7200
	s_movk_i32 s0, 0x1000
	v_add_co_u32_e32 v16, vcc, s0, v14
	v_addc_co_u32_e32 v17, vcc, 0, v15, vcc
	s_waitcnt lgkmcnt(2)
	global_store_dwordx4 v[16:17], v[2:5], off offset:224
	s_waitcnt lgkmcnt(1)
	global_store_dwordx4 v[16:17], v[6:9], off offset:1664
	s_waitcnt lgkmcnt(0)
	global_store_dwordx4 v[16:17], v[10:13], off offset:3104
	ds_read_b128 v[2:5], v125 offset:8640
	ds_read_b128 v[6:9], v125 offset:10080
	ds_read_b128 v[10:13], v125 offset:11520
	s_movk_i32 s0, 0x2000
	v_add_co_u32_e32 v16, vcc, s0, v14
	v_addc_co_u32_e32 v17, vcc, 0, v15, vcc
	s_waitcnt lgkmcnt(2)
	global_store_dwordx4 v[16:17], v[2:5], off offset:448
	;; [unrolled: 12-line block ×5, first 2 shown]
	s_waitcnt lgkmcnt(1)
	global_store_dwordx4 v[16:17], v[6:9], off offset:2560
	s_waitcnt lgkmcnt(0)
	global_store_dwordx4 v[16:17], v[10:13], off offset:4000
	ds_read_b128 v[2:5], v125 offset:25920
	ds_read_b128 v[6:9], v125 offset:27360
	s_movk_i32 s0, 0x6000
	v_add_co_u32_e32 v10, vcc, s0, v14
	v_addc_co_u32_e32 v11, vcc, 0, v15, vcc
	s_waitcnt lgkmcnt(1)
	global_store_dwordx4 v[10:11], v[2:5], off offset:1344
	s_waitcnt lgkmcnt(0)
	global_store_dwordx4 v[10:11], v[6:9], off offset:2784
	ds_read_b128 v[2:5], v125 offset:28800
	ds_read_b128 v[6:9], v125 offset:30240
	ds_read_b128 v[10:13], v125 offset:31680
	s_movk_i32 s0, 0x7000
	v_add_co_u32_e32 v16, vcc, s0, v14
	v_addc_co_u32_e32 v17, vcc, 0, v15, vcc
	s_waitcnt lgkmcnt(2)
	global_store_dwordx4 v[16:17], v[2:5], off offset:128
	s_waitcnt lgkmcnt(1)
	global_store_dwordx4 v[16:17], v[6:9], off offset:1568
	;; [unrolled: 2-line block ×3, first 2 shown]
	ds_read_b128 v[2:5], v125 offset:33120
	ds_read_b128 v[6:9], v125 offset:34560
	v_add_co_u32_e32 v10, vcc, 0x8000, v14
	v_addc_co_u32_e32 v11, vcc, 0, v15, vcc
	s_movk_i32 s0, 0x59
	v_cmp_eq_u32_e32 vcc, s0, v108
	s_waitcnt lgkmcnt(1)
	global_store_dwordx4 v[10:11], v[2:5], off offset:352
	s_waitcnt lgkmcnt(0)
	global_store_dwordx4 v[10:11], v[6:9], off offset:1792
	s_and_b64 exec, exec, vcc
	s_cbranch_execz .LBB0_32
; %bb.31:
	ds_read_b128 v[2:5], v109 offset:36000
	v_add_co_u32_e32 v6, vcc, 0x8000, v1
	v_addc_co_u32_e32 v7, vcc, 0, v0, vcc
	s_waitcnt lgkmcnt(0)
	global_store_dwordx4 v[6:7], v[2:5], off offset:3232
.LBB0_32:
	s_endpgm
	.section	.rodata,"a",@progbits
	.p2align	6, 0x0
	.amdhsa_kernel fft_rtc_fwd_len2250_factors_10_3_5_3_5_wgs_90_tpt_90_halfLds_dp_ip_CI_unitstride_sbrr_R2C_dirReg
		.amdhsa_group_segment_fixed_size 0
		.amdhsa_private_segment_fixed_size 0
		.amdhsa_kernarg_size 88
		.amdhsa_user_sgpr_count 6
		.amdhsa_user_sgpr_private_segment_buffer 1
		.amdhsa_user_sgpr_dispatch_ptr 0
		.amdhsa_user_sgpr_queue_ptr 0
		.amdhsa_user_sgpr_kernarg_segment_ptr 1
		.amdhsa_user_sgpr_dispatch_id 0
		.amdhsa_user_sgpr_flat_scratch_init 0
		.amdhsa_user_sgpr_private_segment_size 0
		.amdhsa_uses_dynamic_stack 0
		.amdhsa_system_sgpr_private_segment_wavefront_offset 0
		.amdhsa_system_sgpr_workgroup_id_x 1
		.amdhsa_system_sgpr_workgroup_id_y 0
		.amdhsa_system_sgpr_workgroup_id_z 0
		.amdhsa_system_sgpr_workgroup_info 0
		.amdhsa_system_vgpr_workitem_id 0
		.amdhsa_next_free_vgpr 228
		.amdhsa_next_free_sgpr 22
		.amdhsa_reserve_vcc 1
		.amdhsa_reserve_flat_scratch 0
		.amdhsa_float_round_mode_32 0
		.amdhsa_float_round_mode_16_64 0
		.amdhsa_float_denorm_mode_32 3
		.amdhsa_float_denorm_mode_16_64 3
		.amdhsa_dx10_clamp 1
		.amdhsa_ieee_mode 1
		.amdhsa_fp16_overflow 0
		.amdhsa_exception_fp_ieee_invalid_op 0
		.amdhsa_exception_fp_denorm_src 0
		.amdhsa_exception_fp_ieee_div_zero 0
		.amdhsa_exception_fp_ieee_overflow 0
		.amdhsa_exception_fp_ieee_underflow 0
		.amdhsa_exception_fp_ieee_inexact 0
		.amdhsa_exception_int_div_zero 0
	.end_amdhsa_kernel
	.text
.Lfunc_end0:
	.size	fft_rtc_fwd_len2250_factors_10_3_5_3_5_wgs_90_tpt_90_halfLds_dp_ip_CI_unitstride_sbrr_R2C_dirReg, .Lfunc_end0-fft_rtc_fwd_len2250_factors_10_3_5_3_5_wgs_90_tpt_90_halfLds_dp_ip_CI_unitstride_sbrr_R2C_dirReg
                                        ; -- End function
	.section	.AMDGPU.csdata,"",@progbits
; Kernel info:
; codeLenInByte = 22608
; NumSgprs: 26
; NumVgprs: 228
; ScratchSize: 0
; MemoryBound: 0
; FloatMode: 240
; IeeeMode: 1
; LDSByteSize: 0 bytes/workgroup (compile time only)
; SGPRBlocks: 3
; VGPRBlocks: 56
; NumSGPRsForWavesPerEU: 26
; NumVGPRsForWavesPerEU: 228
; Occupancy: 1
; WaveLimiterHint : 1
; COMPUTE_PGM_RSRC2:SCRATCH_EN: 0
; COMPUTE_PGM_RSRC2:USER_SGPR: 6
; COMPUTE_PGM_RSRC2:TRAP_HANDLER: 0
; COMPUTE_PGM_RSRC2:TGID_X_EN: 1
; COMPUTE_PGM_RSRC2:TGID_Y_EN: 0
; COMPUTE_PGM_RSRC2:TGID_Z_EN: 0
; COMPUTE_PGM_RSRC2:TIDIG_COMP_CNT: 0
	.type	__hip_cuid_45ec0b96adb442b8,@object ; @__hip_cuid_45ec0b96adb442b8
	.section	.bss,"aw",@nobits
	.globl	__hip_cuid_45ec0b96adb442b8
__hip_cuid_45ec0b96adb442b8:
	.byte	0                               ; 0x0
	.size	__hip_cuid_45ec0b96adb442b8, 1

	.ident	"AMD clang version 19.0.0git (https://github.com/RadeonOpenCompute/llvm-project roc-6.4.0 25133 c7fe45cf4b819c5991fe208aaa96edf142730f1d)"
	.section	".note.GNU-stack","",@progbits
	.addrsig
	.addrsig_sym __hip_cuid_45ec0b96adb442b8
	.amdgpu_metadata
---
amdhsa.kernels:
  - .args:
      - .actual_access:  read_only
        .address_space:  global
        .offset:         0
        .size:           8
        .value_kind:     global_buffer
      - .offset:         8
        .size:           8
        .value_kind:     by_value
      - .actual_access:  read_only
        .address_space:  global
        .offset:         16
        .size:           8
        .value_kind:     global_buffer
      - .actual_access:  read_only
        .address_space:  global
        .offset:         24
        .size:           8
        .value_kind:     global_buffer
      - .offset:         32
        .size:           8
        .value_kind:     by_value
      - .actual_access:  read_only
        .address_space:  global
        .offset:         40
        .size:           8
        .value_kind:     global_buffer
      - .actual_access:  read_only
        .address_space:  global
        .offset:         48
        .size:           8
        .value_kind:     global_buffer
      - .offset:         56
        .size:           4
        .value_kind:     by_value
      - .actual_access:  read_only
        .address_space:  global
        .offset:         64
        .size:           8
        .value_kind:     global_buffer
      - .actual_access:  read_only
        .address_space:  global
        .offset:         72
        .size:           8
        .value_kind:     global_buffer
      - .address_space:  global
        .offset:         80
        .size:           8
        .value_kind:     global_buffer
    .group_segment_fixed_size: 0
    .kernarg_segment_align: 8
    .kernarg_segment_size: 88
    .language:       OpenCL C
    .language_version:
      - 2
      - 0
    .max_flat_workgroup_size: 90
    .name:           fft_rtc_fwd_len2250_factors_10_3_5_3_5_wgs_90_tpt_90_halfLds_dp_ip_CI_unitstride_sbrr_R2C_dirReg
    .private_segment_fixed_size: 0
    .sgpr_count:     26
    .sgpr_spill_count: 0
    .symbol:         fft_rtc_fwd_len2250_factors_10_3_5_3_5_wgs_90_tpt_90_halfLds_dp_ip_CI_unitstride_sbrr_R2C_dirReg.kd
    .uniform_work_group_size: 1
    .uses_dynamic_stack: false
    .vgpr_count:     228
    .vgpr_spill_count: 0
    .wavefront_size: 64
amdhsa.target:   amdgcn-amd-amdhsa--gfx906
amdhsa.version:
  - 1
  - 2
...

	.end_amdgpu_metadata
